;; amdgpu-corpus repo=ROCm/rocFFT kind=compiled arch=gfx1201 opt=O3
	.text
	.amdgcn_target "amdgcn-amd-amdhsa--gfx1201"
	.amdhsa_code_object_version 6
	.protected	bluestein_single_fwd_len39_dim1_half_op_CI_CI ; -- Begin function bluestein_single_fwd_len39_dim1_half_op_CI_CI
	.globl	bluestein_single_fwd_len39_dim1_half_op_CI_CI
	.p2align	8
	.type	bluestein_single_fwd_len39_dim1_half_op_CI_CI,@function
bluestein_single_fwd_len39_dim1_half_op_CI_CI: ; @bluestein_single_fwd_len39_dim1_half_op_CI_CI
; %bb.0:
	s_load_b128 s[4:7], s[0:1], 0x28
	v_mul_u32_u24_e32 v1, 0x13b2, v0
	s_mov_b32 s2, exec_lo
	s_delay_alu instid0(VALU_DEP_1) | instskip(NEXT) | instid1(VALU_DEP_1)
	v_lshrrev_b32_e32 v3, 16, v1
	v_mad_co_u64_u32 v[1:2], null, ttmp9, 19, v[3:4]
	v_mov_b32_e32 v2, 0
	s_wait_kmcnt 0x0
	s_delay_alu instid0(VALU_DEP_1)
	v_cmpx_gt_u64_e64 s[4:5], v[1:2]
	s_cbranch_execz .LBB0_15
; %bb.1:
	v_mul_hi_u32 v2, 0xaf286bcb, v1
	v_mul_lo_u16 v3, v3, 13
	s_clause 0x1
	s_load_b64 s[24:25], s[0:1], 0x0
	s_load_b64 s[4:5], s[0:1], 0x38
	s_delay_alu instid0(VALU_DEP_1) | instskip(NEXT) | instid1(VALU_DEP_3)
	v_sub_nc_u16 v3, v0, v3
	v_sub_nc_u32_e32 v4, v1, v2
	s_delay_alu instid0(VALU_DEP_2) | instskip(SKIP_1) | instid1(VALU_DEP_3)
	v_and_b32_e32 v0, 0xffff, v3
	v_cmp_gt_u16_e32 vcc_lo, 3, v3
	v_lshrrev_b32_e32 v4, 1, v4
	s_delay_alu instid0(VALU_DEP_3) | instskip(SKIP_1) | instid1(VALU_DEP_3)
	v_lshlrev_b32_e32 v24, 2, v0
	v_or_b32_e32 v25, 12, v0
	v_add_nc_u32_e32 v2, v4, v2
	v_or_b32_e32 v23, 24, v0
	v_or_b32_e32 v22, 36, v0
	s_delay_alu instid0(VALU_DEP_3) | instskip(NEXT) | instid1(VALU_DEP_1)
	v_lshrrev_b32_e32 v2, 4, v2
	v_mul_lo_u32 v2, v2, 19
	s_delay_alu instid0(VALU_DEP_1) | instskip(NEXT) | instid1(VALU_DEP_1)
	v_sub_nc_u32_e32 v2, v1, v2
	v_mul_u32_u24_e32 v26, 39, v2
	s_delay_alu instid0(VALU_DEP_1)
	v_lshlrev_b32_e32 v27, 2, v26
	s_and_saveexec_b32 s3, vcc_lo
	s_cbranch_execz .LBB0_3
; %bb.2:
	s_load_b64 s[8:9], s[0:1], 0x18
	s_wait_kmcnt 0x0
	s_load_b128 s[8:11], s[8:9], 0x0
	s_clause 0x7
	global_load_b32 v18, v24, s[24:25]
	global_load_b32 v19, v24, s[24:25] offset:12
	global_load_b32 v20, v24, s[24:25] offset:24
	;; [unrolled: 1-line block ×7, first 2 shown]
	s_wait_kmcnt 0x0
	v_mad_co_u64_u32 v[2:3], null, s10, v1, 0
	v_mad_co_u64_u32 v[4:5], null, s8, v0, 0
	;; [unrolled: 1-line block ×5, first 2 shown]
	s_delay_alu instid0(VALU_DEP_4) | instskip(NEXT) | instid1(VALU_DEP_4)
	v_mad_co_u64_u32 v[12:13], null, s11, v1, v[3:4]
	v_mad_co_u64_u32 v[13:14], null, s9, v0, v[5:6]
	s_delay_alu instid0(VALU_DEP_4) | instskip(NEXT) | instid1(VALU_DEP_4)
	v_mad_co_u64_u32 v[14:15], null, s9, v25, v[7:8]
	v_mad_co_u64_u32 v[15:16], null, s9, v23, v[9:10]
	s_delay_alu instid0(VALU_DEP_4) | instskip(SKIP_3) | instid1(VALU_DEP_4)
	v_mov_b32_e32 v3, v12
	v_mad_co_u64_u32 v[16:17], null, s9, v22, v[11:12]
	v_mov_b32_e32 v5, v13
	v_mov_b32_e32 v7, v14
	v_lshlrev_b64_e32 v[2:3], 2, v[2:3]
	v_mov_b32_e32 v9, v15
	s_mul_u64 s[10:11], s[8:9], 12
	v_lshlrev_b64_e32 v[4:5], 2, v[4:5]
	v_mov_b32_e32 v11, v16
	s_clause 0x4
	global_load_b32 v12, v24, s[24:25] offset:96
	global_load_b32 v17, v24, s[24:25] offset:108
	;; [unrolled: 1-line block ×5, first 2 shown]
	v_add_co_u32 v13, s2, s6, v2
	v_lshlrev_b64_e32 v[8:9], 2, v[8:9]
	v_add_co_ci_u32_e64 v14, s2, s7, v3, s2
	v_lshlrev_b64_e32 v[2:3], 2, v[10:11]
	s_delay_alu instid0(VALU_DEP_4) | instskip(SKIP_1) | instid1(VALU_DEP_3)
	v_add_co_u32 v4, s2, v13, v4
	s_wait_alu 0xf1ff
	v_add_co_ci_u32_e64 v5, s2, v14, v5, s2
	v_add_co_u32 v8, s2, v13, v8
	s_wait_alu 0xf1ff
	v_add_co_ci_u32_e64 v9, s2, v14, v9, s2
	;; [unrolled: 3-line block ×3, first 2 shown]
	global_load_b32 v10, v[4:5], off
	s_wait_alu 0xfffe
	v_add_co_u32 v4, s2, v4, s10
	s_wait_alu 0xf1ff
	v_add_co_ci_u32_e64 v5, s2, s11, v5, s2
	s_clause 0x1
	global_load_b32 v11, v[8:9], off
	global_load_b32 v15, v[2:3], off
	v_add_co_u32 v2, s2, v4, s10
	s_wait_alu 0xf1ff
	v_add_co_ci_u32_e64 v3, s2, s11, v5, s2
	global_load_b32 v16, v[4:5], off
	v_lshlrev_b64_e32 v[6:7], 2, v[6:7]
	s_mul_i32 s6, s9, 24
	global_load_b32 v35, v[2:3], off
	v_add_co_u32 v4, s2, v2, s10
	s_wait_alu 0xf1ff
	v_add_co_ci_u32_e64 v5, s2, s11, v3, s2
	v_add_co_u32 v2, s2, v13, v6
	s_wait_alu 0xf1ff
	v_add_co_ci_u32_e64 v3, s2, v14, v7, s2
	s_delay_alu instid0(VALU_DEP_3)
	v_mad_co_u64_u32 v[8:9], null, s8, 24, v[4:5]
	s_clause 0x1
	global_load_b32 v13, v[4:5], off
	global_load_b32 v14, v[2:3], off
	s_wait_alu 0xfffe
	v_add_nc_u32_e32 v9, s6, v9
	v_add_co_u32 v2, s2, v8, s10
	s_wait_alu 0xf1ff
	s_delay_alu instid0(VALU_DEP_2) | instskip(NEXT) | instid1(VALU_DEP_2)
	v_add_co_ci_u32_e64 v3, s2, s11, v9, s2
	v_add_co_u32 v4, s2, v2, s10
	global_load_b32 v8, v[8:9], off
	s_wait_alu 0xf1ff
	v_add_co_ci_u32_e64 v5, s2, s11, v3, s2
	global_load_b32 v9, v[2:3], off
	v_mad_co_u64_u32 v[6:7], null, s8, 24, v[4:5]
	global_load_b32 v36, v[4:5], off
	v_add_nc_u32_e32 v7, s6, v7
	v_add_co_u32 v2, s2, v6, s10
	s_wait_alu 0xf1ff
	s_delay_alu instid0(VALU_DEP_2) | instskip(NEXT) | instid1(VALU_DEP_2)
	v_add_co_ci_u32_e64 v3, s2, s11, v7, s2
	v_add_co_u32 v4, s2, v2, s10
	global_load_b32 v6, v[6:7], off
	s_wait_alu 0xf1ff
	v_add_co_ci_u32_e64 v5, s2, s11, v3, s2
	global_load_b32 v2, v[2:3], off
	global_load_b32 v3, v[4:5], off
	v_lshl_add_u32 v4, v0, 2, v27
	v_add_nc_u32_e32 v5, v27, v24
	s_wait_loadcnt 0x19
	v_lshrrev_b32_e32 v7, 16, v18
	s_wait_loadcnt 0x18
	v_lshrrev_b32_e32 v37, 16, v19
	s_wait_loadcnt 0x17
	v_lshrrev_b32_e32 v38, 16, v20
	s_wait_loadcnt 0x16
	v_lshrrev_b32_e32 v39, 16, v21
	s_wait_loadcnt 0x15
	v_lshrrev_b32_e32 v40, 16, v28
	s_wait_loadcnt 0x14
	v_lshrrev_b32_e32 v41, 16, v29
	s_wait_loadcnt 0x13
	v_lshrrev_b32_e32 v42, 16, v30
	s_wait_loadcnt 0x12
	v_lshrrev_b32_e32 v43, 16, v31
	s_wait_loadcnt 0x11
	v_lshrrev_b32_e32 v44, 16, v12
	s_wait_loadcnt 0x10
	v_lshrrev_b32_e32 v45, 16, v17
	s_wait_loadcnt 0xf
	v_lshrrev_b32_e32 v46, 16, v32
	s_wait_loadcnt 0xe
	v_lshrrev_b32_e32 v47, 16, v33
	s_wait_loadcnt 0xd
	v_lshrrev_b32_e32 v48, 16, v34
	s_wait_loadcnt 0xc
	v_lshrrev_b32_e32 v49, 16, v10
	v_mul_f16_e32 v50, v7, v10
	s_wait_loadcnt 0xb
	v_lshrrev_b32_e32 v51, 16, v11
	s_wait_loadcnt 0xa
	v_lshrrev_b32_e32 v53, 16, v15
	v_mul_f16_e32 v7, v7, v49
	v_fma_f16 v49, v18, v49, -v50
	v_mul_f16_e32 v52, v44, v11
	v_mul_f16_e32 v54, v48, v15
	s_wait_loadcnt 0x9
	v_lshrrev_b32_e32 v50, 16, v16
	v_mul_f16_e32 v55, v37, v16
	v_mul_f16_e32 v44, v44, v51
	;; [unrolled: 1-line block ×3, first 2 shown]
	v_fmac_f16_e32 v7, v18, v10
	v_mul_f16_e32 v10, v37, v50
	s_wait_loadcnt 0x8
	v_lshrrev_b32_e32 v37, 16, v35
	v_fma_f16 v18, v19, v50, -v55
	v_mul_f16_e32 v50, v38, v35
	v_fmac_f16_e32 v44, v12, v11
	v_fmac_f16_e32 v48, v34, v15
	v_pack_b32_f16 v7, v7, v49
	v_mul_f16_e32 v11, v38, v37
	s_wait_loadcnt 0x7
	v_lshrrev_b32_e32 v15, 16, v13
	v_fma_f16 v51, v12, v51, -v52
	v_fmac_f16_e32 v10, v19, v16
	v_fma_f16 v12, v20, v37, -v50
	v_mul_f16_e32 v16, v39, v13
	s_wait_loadcnt 0x6
	v_lshrrev_b32_e32 v19, 16, v14
	ds_store_b32 v4, v7
	v_fmac_f16_e32 v11, v20, v35
	v_mul_f16_e32 v7, v39, v15
	v_pack_b32_f16 v4, v10, v18
	v_fma_f16 v10, v21, v15, -v16
	v_mul_f16_e32 v15, v40, v19
	v_pack_b32_f16 v11, v11, v12
	v_fmac_f16_e32 v7, v21, v13
	v_fma_f16 v52, v34, v53, -v54
	v_mul_f16_e32 v34, v40, v14
	s_wait_loadcnt 0x5
	v_lshrrev_b32_e32 v12, 16, v8
	v_fmac_f16_e32 v15, v28, v14
	v_mul_f16_e32 v13, v41, v8
	ds_store_2addr_b32 v5, v4, v11 offset0:3 offset1:6
	v_pack_b32_f16 v4, v7, v10
	v_mul_f16_e32 v7, v41, v12
	s_wait_loadcnt 0x4
	v_lshrrev_b32_e32 v11, 16, v9
	v_mul_f16_e32 v14, v42, v9
	v_fma_f16 v16, v28, v19, -v34
	v_fma_f16 v12, v29, v12, -v13
	v_fmac_f16_e32 v7, v29, v8
	s_wait_loadcnt 0x3
	v_lshrrev_b32_e32 v8, 16, v36
	v_mul_f16_e32 v13, v42, v11
	v_fma_f16 v11, v30, v11, -v14
	v_mul_f16_e32 v14, v43, v36
	v_pack_b32_f16 v10, v15, v16
	v_pack_b32_f16 v7, v7, v12
	v_mul_f16_e32 v12, v43, v8
	v_fmac_f16_e32 v13, v30, v9
	v_fma_f16 v8, v31, v8, -v14
	v_pack_b32_f16 v37, v44, v51
	s_delay_alu instid0(VALU_DEP_4)
	v_fmac_f16_e32 v12, v31, v36
	s_wait_loadcnt 0x2
	v_lshrrev_b32_e32 v9, 16, v6
	v_mul_f16_e32 v14, v45, v6
	s_wait_loadcnt 0x1
	v_lshrrev_b32_e32 v15, 16, v2
	s_wait_loadcnt 0x0
	v_lshrrev_b32_e32 v18, 16, v3
	v_mul_f16_e32 v16, v45, v9
	v_fma_f16 v9, v17, v9, -v14
	v_mul_f16_e32 v14, v46, v2
	v_mul_f16_e32 v19, v46, v15
	;; [unrolled: 1-line block ×4, first 2 shown]
	v_fmac_f16_e32 v16, v17, v6
	v_fma_f16 v6, v32, v15, -v14
	v_fmac_f16_e32 v19, v32, v2
	v_fma_f16 v2, v33, v18, -v20
	v_fmac_f16_e32 v21, v33, v3
	v_pack_b32_f16 v3, v13, v11
	v_pack_b32_f16 v8, v12, v8
	;; [unrolled: 1-line block ×6, first 2 shown]
	ds_store_2addr_b32 v5, v4, v10 offset0:9 offset1:12
	ds_store_2addr_b32 v5, v7, v3 offset0:15 offset1:18
	;; [unrolled: 1-line block ×5, first 2 shown]
.LBB0_3:
	s_or_b32 exec_lo, exec_lo, s3
	s_clause 0x1
	s_load_b64 s[2:3], s[0:1], 0x20
	s_load_b64 s[0:1], s[0:1], 0x8
	v_mov_b32_e32 v2, 0
	global_wb scope:SCOPE_SE
	s_wait_dscnt 0x0
	s_wait_kmcnt 0x0
	s_barrier_signal -1
	s_barrier_wait -1
	global_inv scope:SCOPE_SE
                                        ; implicit-def: $vgpr16
                                        ; implicit-def: $vgpr19
                                        ; implicit-def: $vgpr14
                                        ; implicit-def: $vgpr6
                                        ; implicit-def: $vgpr21
                                        ; implicit-def: $vgpr12
	s_and_saveexec_b32 s6, vcc_lo
	s_cbranch_execz .LBB0_5
; %bb.4:
	v_lshl_add_u32 v4, v26, 2, v24
	ds_load_2addr_b32 v[2:3], v4 offset1:3
	ds_load_2addr_b32 v[20:21], v4 offset0:6 offset1:9
	ds_load_2addr_b32 v[18:19], v4 offset0:12 offset1:15
	;; [unrolled: 1-line block ×5, first 2 shown]
	ds_load_b32 v12, v4 offset:144
.LBB0_5:
	s_wait_alu 0xfffe
	s_or_b32 exec_lo, exec_lo, s6
	s_wait_dscnt 0x0
	v_pk_add_f16 v4, v3, v12 neg_lo:[0,1] neg_hi:[0,1]
	v_pk_add_f16 v35, v20, v7 neg_lo:[0,1] neg_hi:[0,1]
	v_pk_add_f16 v42, v12, v3
	v_pk_add_f16 v51, v7, v20
	v_pk_add_f16 v71, v21, v6 neg_lo:[0,1] neg_hi:[0,1]
	v_lshrrev_b32_e32 v5, 16, v4
	v_lshrrev_b32_e32 v39, 16, v35
	v_pk_add_f16 v54, v6, v21
	v_lshrrev_b32_e32 v46, 16, v42
	v_mul_f16_e32 v44, 0xba95, v4
	v_mul_f16_e32 v43, 0xba95, v5
	;; [unrolled: 1-line block ×6, first 2 shown]
	v_fmamk_f16 v30, v42, 0x388b, v43
	v_fma_f16 v31, v42, 0x2fb7, -v11
	v_fmac_f16_e32 v11, 0x2fb7, v42
	v_lshrrev_b32_e32 v52, 16, v51
	v_mul_f16_e32 v58, 0xb3a8, v39
	v_mul_f16_e32 v48, 0x394e, v35
	v_lshrrev_b32_e32 v50, 16, v71
	v_lshrrev_b32_e32 v55, 16, v54
	v_mul_f16_e32 v60, 0xba95, v71
	v_fma_f16 v10, v46, 0x388b, -v44
	v_fmamk_f16 v13, v46, 0x2fb7, v8
	v_mul_f16_e32 v28, 0xbb7b, v5
	v_fmamk_f16 v29, v42, 0x3b15, v40
	v_mul_f16_e32 v5, 0xb94e, v5
	v_mul_f16_e32 v41, 0xba95, v39
	;; [unrolled: 1-line block ×3, first 2 shown]
	v_fmamk_f16 v61, v51, 0xb5ac, v47
	v_mul_f16_e32 v45, 0xb3a8, v35
	v_fma_f16 v64, v51, 0xbbc4, -v58
	v_fmac_f16_e32 v58, 0xbbc4, v51
	v_fmamk_f16 v69, v52, 0xb9fd, v48
	v_fma_f16 v70, v52, 0xb9fd, -v48
	v_mul_f16_e32 v48, 0xb3a8, v50
	v_mul_f16_e32 v79, 0x3b7b, v50
	;; [unrolled: 1-line block ×4, first 2 shown]
	v_pk_add_f16 v92, v18, v15
	v_pk_add_f16 v93, v18, v15 neg_lo:[0,1] neg_hi:[0,1]
	v_fmamk_f16 v94, v55, 0x388b, v60
	v_fma_f16 v96, v55, 0x388b, -v60
	v_lshrrev_b32_e32 v60, 16, v2
	v_add_f16_e32 v30, v30, v2
	v_add_f16_e32 v11, v11, v2
	v_fma_f16 v8, v46, 0x2fb7, -v8
	v_fma_f16 v32, v42, 0xb5ac, -v28
	v_fmac_f16_e32 v28, 0xb5ac, v42
	v_fma_f16 v36, v42, 0xb9fd, -v5
	v_fmamk_f16 v59, v51, 0x388b, v41
	v_fma_f16 v63, v52, 0xb5ac, -v49
	v_mul_f16_e32 v65, 0x394e, v39
	v_fmamk_f16 v66, v52, 0xbbc4, v45
	v_mul_f16_e32 v39, 0x3bf1, v39
	v_fmamk_f16 v81, v54, 0xbbc4, v48
	v_fma_f16 v83, v54, 0xb5ac, -v79
	v_fmamk_f16 v85, v55, 0xb5ac, v56
	v_fmac_f16_e32 v79, 0xb5ac, v54
	v_fma_f16 v86, v55, 0xb5ac, -v56
	v_fmamk_f16 v89, v55, 0x3b15, v57
	v_fma_f16 v90, v55, 0x3b15, -v57
	v_lshrrev_b32_e32 v56, 16, v93
	v_add_f16_e32 v29, v29, v2
	v_mul_f16_e32 v57, 0xb9fd, v92
	v_add_f16_e32 v10, v10, v60
	v_add_f16_e32 v30, v61, v30
	;; [unrolled: 1-line block ×3, first 2 shown]
	v_mul_f16_e32 v100, 0x3b15, v92
	v_add_f16_e32 v11, v58, v11
	v_pk_add_f16 v102, v19, v14 neg_lo:[0,1] neg_hi:[0,1]
	v_pk_add_f16 v103, v19, v14
	v_mul_f16_e32 v9, 0xbb7b, v4
	v_fmac_f16_e32 v5, 0xb9fd, v42
	v_fma_f16 v67, v52, 0xbbc4, -v45
	v_fma_f16 v68, v51, 0xb9fd, -v65
	v_fmac_f16_e32 v65, 0xb9fd, v51
	v_fma_f16 v72, v51, 0x2fb7, -v39
	v_add_f16_e32 v29, v59, v29
	v_add_f16_e32 v31, v31, v2
	;; [unrolled: 1-line block ×3, first 2 shown]
	v_fmamk_f16 v59, v56, 0x394e, v57
	v_add_f16_e32 v13, v66, v13
	v_fmamk_f16 v101, v56, 0xb770, v100
	v_fmac_f16_e32 v100, 0x3770, v56
	v_add_f16_e32 v8, v8, v60
	v_lshrrev_b32_e32 v63, 16, v102
	v_add_f16_e32 v28, v28, v2
	v_mul_f16_e32 v58, 0x2fb7, v103
	v_add_f16_e32 v36, v36, v2
	v_mul_f16_e32 v66, 0x388b, v103
	v_pk_add_f16 v104, v16, v17 neg_lo:[0,1] neg_hi:[0,1]
	v_add_f16_e32 v30, v81, v30
	v_pk_add_f16 v105, v16, v17
	v_add_f16_e32 v11, v79, v11
	v_fmamk_f16 v33, v46, 0xb5ac, v9
	v_mul_f16_e32 v34, 0xb94e, v4
	v_mul_f16_e32 v38, 0xb3a8, v4
	;; [unrolled: 1-line block ×3, first 2 shown]
	v_fmac_f16_e32 v39, 0x2fb7, v51
	v_add_f16_e32 v31, v64, v31
	v_add_f16_e32 v32, v32, v2
	;; [unrolled: 1-line block ×4, first 2 shown]
	v_fmamk_f16 v67, v63, 0x3bf1, v58
	v_add_f16_e32 v36, v72, v36
	v_fmamk_f16 v72, v63, 0x3a95, v66
	v_fmac_f16_e32 v66, 0xba95, v63
	v_lshrrev_b32_e32 v64, 16, v104
	v_add_f16_e32 v5, v5, v2
	v_add_f16_e32 v30, v59, v30
	v_mul_f16_e32 v59, 0x3b15, v105
	v_pk_mul_f16 v65, 0xb3a8b770, v4
	v_add_f16_e32 v4, v100, v11
	v_mul_f16_e32 v11, 0xb9fd, v105
	v_fma_f16 v9, v46, 0xb5ac, -v9
	v_fmamk_f16 v37, v46, 0xb9fd, v34
	v_fma_f16 v34, v46, 0xb9fd, -v34
	v_fmamk_f16 v74, v52, 0x2fb7, v45
	v_fma_f16 v76, v52, 0x2fb7, -v45
	v_mul_f16_e32 v45, 0xbbf1, v50
	v_add_f16_e32 v33, v33, v60
	v_add_f16_e32 v32, v68, v32
	;; [unrolled: 1-line block ×3, first 2 shown]
	v_fmamk_f16 v5, v64, 0x3770, v59
	v_add_f16_e32 v30, v67, v30
	v_pk_fma_f16 v68, 0x3b15bbc4, v42, v65 op_sel:[0,0,1] op_sel_hi:[1,1,0] neg_lo:[0,0,1] neg_hi:[0,0,1]
	v_add_f16_e32 v4, v66, v4
	v_fmamk_f16 v100, v64, 0x394e, v11
	v_fmac_f16_e32 v11, 0xb94e, v64
	v_pk_mul_f16 v67, 0x3770ba95, v35
	v_fmamk_f16 v73, v46, 0xbbc4, v38
	v_fma_f16 v38, v46, 0xbbc4, -v38
	v_mul_f16_e32 v75, 0x3770, v35
	v_mul_f16_e32 v53, 0xb3a8, v71
	v_fmamk_f16 v80, v54, 0x2fb7, v45
	v_mul_f16_e32 v84, 0x3770, v50
	v_mul_f16_e32 v88, 0xba95, v50
	v_lshrrev_b32_e32 v62, 16, v92
	v_add_f16_e32 v33, v69, v33
	v_add_f16_e32 v9, v9, v60
	;; [unrolled: 1-line block ×4, first 2 shown]
	v_pk_add_f16 v35, v68, v2
	v_add_f16_e32 v5, v5, v30
	v_add_f16_e32 v4, v11, v4
	v_pk_fma_f16 v11, 0x388b3b15, v51, v67 op_sel:[0,0,1] op_sel_hi:[1,1,0] neg_lo:[0,0,1] neg_hi:[0,0,1]
	v_mul_f16_e32 v30, 0x3770, v93
	v_mul_f16_e32 v69, 0x33a8, v93
	v_fma_f16 v77, v52, 0x3b15, -v75
	v_fma_f16 v82, v55, 0xbbc4, -v53
	;; [unrolled: 1-line block ×3, first 2 shown]
	v_fmac_f16_e32 v84, 0x3b15, v54
	v_fma_f16 v91, v54, 0x388b, -v88
	v_mul_f16_e32 v95, 0xb94e, v71
	v_mul_f16_e32 v61, 0x394e, v93
	v_add_f16_e32 v9, v70, v9
	v_add_f16_e32 v37, v74, v37
	;; [unrolled: 1-line block ×4, first 2 shown]
	v_pk_add_f16 v11, v11, v35
	v_fmamk_f16 v35, v62, 0x3b15, v30
	v_mul_f16_e32 v76, 0x2fb7, v92
	v_add_f16_e32 v29, v80, v29
	v_mul_f16_e32 v66, 0xbbf1, v93
	v_fma_f16 v30, v62, 0x3b15, -v30
	v_add_f16_e32 v31, v83, v31
	v_add_f16_e32 v13, v85, v13
	v_mul_f16_e32 v80, 0xbbc4, v92
	v_add_f16_e32 v8, v86, v8
	v_fmamk_f16 v83, v62, 0xbbc4, v69
	v_fma_f16 v85, v62, 0xbbc4, -v69
	v_pk_mul_f16 v69, 0xb94ebbf1, v71
	v_fmac_f16_e32 v88, 0x388b, v54
	v_mul_f16_e32 v50, 0xb5ac, v92
	v_fma_f16 v98, v55, 0xb9fd, -v95
	v_fma_f16 v68, v62, 0xb9fd, -v61
	v_add_f16_e32 v38, v77, v38
	v_add_f16_e32 v10, v82, v10
	v_fmamk_f16 v77, v56, 0x3bf1, v76
	v_fmamk_f16 v79, v62, 0x2fb7, v66
	v_fmac_f16_e32 v76, 0xbbf1, v56
	v_fma_f16 v81, v62, 0x2fb7, -v66
	v_add_f16_e32 v32, v87, v32
	v_fmamk_f16 v82, v56, 0xb3a8, v80
	v_add_f16_e32 v33, v89, v33
	v_add_f16_e32 v28, v84, v28
	v_mul_f16_e32 v84, 0x3a95, v93
	v_add_f16_e32 v9, v90, v9
	v_add_f16_e32 v36, v91, v36
	;; [unrolled: 1-line block ×3, first 2 shown]
	v_pk_fma_f16 v70, 0x2fb7b9fd, v54, v69 op_sel:[0,0,1] op_sel_hi:[1,1,0] neg_lo:[0,0,1] neg_hi:[0,0,1]
	v_lshrrev_b32_e32 v74, 16, v103
	v_add_f16_e32 v8, v30, v8
	v_mul_f16_e32 v30, 0x33a8, v102
	v_mul_f16_e32 v94, 0x3b15, v103
	v_fmamk_f16 v99, v56, 0xbb7b, v50
	v_fmac_f16_e32 v80, 0x33a8, v56
	v_fma_f16 v71, v62, 0x388b, -v84
	v_add_f16_e32 v39, v88, v39
	v_mul_f16_e32 v66, 0xb9fd, v103
	v_pk_add_f16 v11, v70, v11
	v_mul_f16_e32 v70, 0x3bf1, v102
	v_add_f16_e32 v38, v98, v38
	v_mul_f16_e32 v87, 0xba95, v102
	v_add_f16_e32 v10, v68, v10
	v_add_f16_e32 v31, v101, v31
	;; [unrolled: 1-line block ×4, first 2 shown]
	v_fmamk_f16 v79, v74, 0xbbc4, v30
	v_fma_f16 v30, v74, 0xbbc4, -v30
	v_add_f16_e32 v28, v76, v28
	v_add_f16_e32 v9, v81, v9
	v_mul_f16_e32 v68, 0x3770, v102
	v_add_f16_e32 v36, v82, v36
	v_pk_mul_f16 v77, 0x3a95bb7b, v93
	v_fmamk_f16 v76, v63, 0xb770, v94
	v_add_f16_e32 v34, v96, v34
	v_add_f16_e32 v29, v99, v29
	v_fmamk_f16 v88, v63, 0xb94e, v66
	v_fma_f16 v89, v74, 0x2fb7, -v70
	v_fmamk_f16 v90, v74, 0x388b, v87
	v_add_f16_e32 v13, v35, v13
	v_add_f16_e32 v37, v83, v37
	v_fmamk_f16 v82, v74, 0x3b15, v68
	v_add_f16_e32 v39, v80, v39
	v_pk_fma_f16 v80, 0xb5ac388b, v92, v77 op_sel:[0,0,1] op_sel_hi:[1,1,0] neg_lo:[0,0,1] neg_hi:[0,0,1]
	v_fmac_f16_e32 v94, 0x3770, v63
	v_mul_f16_e32 v83, 0xbb7b, v102
	v_add_f16_e32 v38, v71, v38
	v_lshrrev_b32_e32 v81, 16, v105
	v_add_f16_e32 v31, v72, v31
	v_mul_f16_e32 v71, 0x3770, v104
	v_mul_f16_e32 v72, 0xb94e, v104
	v_add_f16_e32 v96, v30, v9
	v_mul_f16_e32 v9, 0x3a95, v104
	v_add_f16_e32 v36, v76, v36
	v_pk_mul_f16 v76, 0xbb7bb94e, v102
	v_mul_f16_e32 v78, 0x3b15, v52
	v_mul_f16_e32 v35, 0xbbc4, v103
	v_pk_add_f16 v11, v80, v11
	v_fma_f16 v80, v74, 0xb5ac, -v83
	v_add_f16_e32 v29, v88, v29
	v_add_f16_e32 v10, v89, v10
	;; [unrolled: 1-line block ×3, first 2 shown]
	v_fma_f16 v88, v81, 0x3b15, -v71
	v_add_f16_e32 v89, v79, v33
	v_fmamk_f16 v33, v81, 0xb9fd, v72
	v_fma_f16 v90, v81, 0xb9fd, -v72
	v_add_f16_e32 v37, v82, v37
	v_fmamk_f16 v82, v81, 0x388b, v9
	v_add_f16_e32 v39, v94, v39
	v_pk_fma_f16 v30, 0xb9fdb5ac, v103, v76 op_sel:[0,0,1] op_sel_hi:[1,1,0] neg_lo:[0,0,1] neg_hi:[0,0,1]
	v_fma_f16 v94, v81, 0x388b, -v9
	v_pk_fma_f16 v9, 0x3b15bbc4, v42, v65 op_sel:[0,0,1] op_sel_hi:[1,1,0]
	v_pk_mul_f16 v72, 0x388b3b15, v51
	v_mul_f16_e32 v97, 0xb9fd, v55
	v_fma_f16 v87, v74, 0x388b, -v87
	v_fmamk_f16 v91, v63, 0xb3a8, v35
	v_add_f16_e32 v34, v85, v34
	v_fma_f16 v85, v74, 0x3b15, -v68
	v_mul_f16_e32 v68, 0xbbc4, v105
	v_pk_add_f16 v98, v30, v11
	v_add_f16_e32 v99, v80, v38
	v_pack_b32_f16 v9, v75, v9
	v_perm_b32 v38, v2, v78, 0x5040100
	v_add_f16_e32 v30, v88, v10
	v_pack_b32_f16 v10, v73, v72
	v_perm_b32 v73, v67, v2, 0x7060302
	v_pk_mul_f16 v79, 0x2fb7b9fd, v54
	v_mul_f16_e32 v86, 0x388b, v62
	v_fmac_f16_e32 v35, 0x33a8, v63
	v_add_f16_e32 v8, v87, v8
	v_fmamk_f16 v87, v64, 0xb3a8, v68
	v_add_f16_e32 v32, v91, v32
	v_mul_f16_e32 v91, 0x388b, v105
	v_mul_f16_e32 v75, 0xbb7b, v104
	v_pk_add_f16 v9, v9, v38
	v_pk_add_f16 v10, v10, v73
	v_pk_mul_f16 v78, 0xb5ac388b, v92
	v_pack_b32_f16 v88, v95, v79
	v_bfi_b32 v92, 0xffff, v97, v69
	v_mul_f16_e32 v93, 0xb5ac, v74
	v_add_f16_e32 v28, v35, v28
	v_fmamk_f16 v35, v64, 0xba95, v91
	v_add_f16_e32 v29, v87, v29
	v_fmamk_f16 v38, v81, 0xb5ac, v75
	v_fma_f16 v87, v81, 0xb5ac, -v75
	v_pk_mul_f16 v75, 0xb9fdb5ac, v103
	v_pk_add_f16 v9, v10, v9
	v_pk_add_f16 v88, v88, v92
	v_bfi_b32 v86, 0xffff, v86, v77
	v_pack_b32_f16 v84, v84, v78
	v_fmac_f16_e32 v91, 0x3a95, v64
	v_add_f16_e32 v34, v85, v34
	v_mul_f16_e32 v85, 0xb5ac, v105
	v_add_f16_e32 v33, v33, v13
	v_pk_mul_f16 v80, 0x3bf1b3a8, v104
	v_pk_mul_f16 v73, 0xbbc42fb7, v105
	v_add_f16_e32 v13, v100, v31
	v_add_f16_e32 v31, v90, v8
	;; [unrolled: 1-line block ×4, first 2 shown]
	v_pk_add_f16 v8, v88, v9
	v_pk_add_f16 v32, v86, v84
	v_bfi_b32 v82, 0xffff, v93, v76
	v_pack_b32_f16 v83, v83, v75
	v_mul_f16_e32 v84, 0x2fb7, v81
	v_mul_f16_e32 v86, 0x3bf1, v104
	v_fmamk_f16 v11, v64, 0x3b7b, v85
	v_add_f16_e32 v9, v91, v28
	v_pk_add_f16 v8, v32, v8
	v_pk_add_f16 v28, v82, v83
	v_bfi_b32 v82, 0xffff, v84, v80
	v_pack_b32_f16 v83, v86, v73
	v_fmac_f16_e32 v85, 0xbb7b, v64
	v_pk_fma_f16 v95, 0xbbc42fb7, v105, v80 op_sel:[0,0,1] op_sel_hi:[1,1,0] neg_lo:[0,0,1] neg_hi:[0,0,1]
	v_add_f16_e32 v11, v11, v36
	v_pk_add_f16 v28, v28, v8
	v_pk_add_f16 v36, v82, v83
	v_fma_f16 v82, v81, 0x2fb7, -v86
	v_add_f16_e32 v32, v94, v96
	v_add_f16_e32 v38, v38, v37
	;; [unrolled: 1-line block ×4, first 2 shown]
	v_pk_add_f16 v39, v95, v98
	v_pk_add_f16 v37, v36, v28
	v_add_f16_e32 v36, v82, v99
	v_mul_lo_u16 v28, v0, 13
	global_wb scope:SCOPE_SE
	s_barrier_signal -1
	s_barrier_wait -1
	global_inv scope:SCOPE_SE
	s_and_saveexec_b32 s6, vcc_lo
	s_cbranch_execz .LBB0_7
; %bb.6:
	v_mul_f16_e32 v83, 0x388b, v42
	v_mul_f16_e32 v46, 0x388b, v46
	v_pk_add_f16 v3, v3, v2
	v_mul_f16_e32 v84, 0x388b, v51
	v_mul_f16_e32 v51, 0xb5ac, v51
	;; [unrolled: 1-line block ×3, first 2 shown]
	v_add_f16_e32 v44, v44, v46
	v_sub_f16_e32 v43, v83, v43
	v_pk_add_f16 v3, v20, v3
	v_mul_f16_e32 v82, 0x3b15, v42
	v_mul_f16_e32 v85, 0x2fb7, v54
	;; [unrolled: 1-line block ×4, first 2 shown]
	v_add_f16_e32 v44, v44, v60
	v_add_f16_e32 v49, v49, v52
	v_pk_mul_f16 v42, 0x3b15bbc4, v42
	v_add_f16_e32 v43, v43, v2
	v_sub_f16_e32 v47, v51, v47
	v_pk_add_f16 v3, v21, v3
	v_mul_f16_e32 v46, 0x394e, v56
	v_add_f16_e32 v44, v49, v44
	v_add_f16_e32 v49, v53, v55
	v_alignbit_b32 v53, v65, v65, 16
	v_add_f16_e32 v43, v47, v43
	v_sub_f16_e32 v47, v54, v48
	v_bfi_b32 v21, 0xffff, v40, v42
	v_pk_add_f16 v3, v18, v3
	v_mul_f16_e32 v86, 0xbb7b, v56
	v_mul_f16_e32 v56, 0xb9fd, v62
	v_alignbit_b32 v55, v67, v67, 16
	v_add_f16_e32 v43, v47, v43
	v_sub_f16_e32 v46, v57, v46
	v_bfi_b32 v41, 0xffff, v41, v72
	v_pk_add_f16 v21, v82, v21 neg_lo:[0,1] neg_hi:[0,1]
	v_pk_add_f16 v42, v53, v42
	v_pk_add_f16 v3, v19, v3
	v_add_f16_e32 v44, v49, v44
	v_add_f16_e32 v49, v56, v61
	v_alignbit_b32 v56, v69, v69, 16
	v_alignbit_b32 v51, v77, v77, 16
	v_add_f16_e32 v40, v46, v43
	v_pk_add_f16 v41, v84, v41 neg_lo:[0,1] neg_hi:[0,1]
	v_pk_add_f16 v19, v55, v72
	v_bfi_b32 v43, 0xffff, v45, v79
	v_bfi_b32 v21, 0xffff, v21, v42
	v_pk_add_f16 v3, v16, v3
	v_mul_f16_e32 v62, 0xb94e, v63
	v_alignbit_b32 v48, v76, v76, 16
	v_bfi_b32 v42, 0xffff, v86, v51
	v_bfi_b32 v16, 0xffff, v41, v19
	v_pk_add_f16 v19, v85, v43 neg_lo:[0,1] neg_hi:[0,1]
	v_pk_add_f16 v41, v56, v79
	v_pk_add_f16 v3, v17, v3
	;; [unrolled: 1-line block ×3, first 2 shown]
	v_mul_f16_e32 v60, 0xb3a8, v64
	v_alignbit_b32 v47, v80, v80, 16
	v_pk_add_f16 v42, v50, v42 neg_lo:[0,1] neg_hi:[0,1]
	v_pk_add_f16 v17, v78, v51
	v_bfi_b32 v21, 0xffff, v62, v48
	v_bfi_b32 v19, 0xffff, v19, v41
	v_pk_add_f16 v3, v14, v3
	v_pk_add_f16 v2, v16, v2
	v_mul_f16_e32 v63, 0x3bf1, v63
	v_mul_f16_e32 v52, 0x2fb7, v74
	v_bfi_b32 v14, 0xffff, v42, v17
	v_pk_add_f16 v16, v66, v21 neg_lo:[0,1] neg_hi:[0,1]
	v_pk_add_f16 v17, v75, v48
	v_pk_add_f16 v3, v15, v3
	;; [unrolled: 1-line block ×3, first 2 shown]
	v_bfi_b32 v15, 0xffff, v60, v47
	v_mul_f16_e32 v64, 0x3770, v64
	v_mul_f16_e32 v74, 0x3b15, v81
	v_add_f16_e32 v44, v49, v44
	v_add_f16_e32 v49, v52, v70
	v_sub_f16_e32 v18, v58, v63
	v_bfi_b32 v16, 0xffff, v16, v17
	v_pk_add_f16 v3, v6, v3
	v_pk_add_f16 v2, v14, v2
	v_pk_add_f16 v6, v68, v15 neg_lo:[0,1] neg_hi:[0,1]
	v_pk_add_f16 v14, v73, v47
	v_add_f16_e32 v44, v49, v44
	v_add_f16_e32 v20, v74, v71
	;; [unrolled: 1-line block ×3, first 2 shown]
	v_sub_f16_e32 v15, v59, v64
	v_and_b32_e32 v17, 0xffff, v28
	v_pk_add_f16 v3, v7, v3
	v_pk_add_f16 v2, v16, v2
	v_bfi_b32 v6, 0xffff, v6, v14
	v_add_f16_e32 v20, v20, v44
	v_add_f16_e32 v7, v15, v18
	v_add_lshl_u32 v14, v26, v17, 2
	v_pk_add_f16 v3, v12, v3
	v_pk_add_f16 v2, v6, v2
	v_perm_b32 v12, v38, v11, 0x5040100
	v_pack_b32_f16 v6, v7, v20
	v_perm_b32 v7, v33, v13, 0x5040100
	v_perm_b32 v15, v35, v10, 0x5040100
	v_perm_b32 v16, v37, v39, 0x5040100
	v_alignbit_b32 v17, v36, v37, 16
	v_perm_b32 v18, v32, v9, 0x5040100
	v_perm_b32 v19, v34, v8, 0x5040100
	;; [unrolled: 1-line block ×4, first 2 shown]
	v_bfi_b32 v40, 0xffff, v29, v39
	ds_store_2addr_b32 v14, v3, v2 offset1:1
	ds_store_2addr_b32 v14, v6, v7 offset0:2 offset1:3
	ds_store_2addr_b32 v14, v15, v12 offset0:4 offset1:5
	;; [unrolled: 1-line block ×5, first 2 shown]
	ds_store_b32 v14, v40 offset:48
.LBB0_7:
	s_wait_alu 0xfffe
	s_or_b32 exec_lo, exec_lo, s6
	v_lshlrev_b32_e32 v2, 3, v0
	s_load_b128 s[20:23], s[2:3], 0x0
	global_wb scope:SCOPE_SE
	s_wait_dscnt 0x0
	s_wait_kmcnt 0x0
	s_barrier_signal -1
	s_barrier_wait -1
	global_inv scope:SCOPE_SE
	global_load_b64 v[2:3], v2, s[0:1]
	v_add_lshl_u32 v19, v26, v0, 2
	ds_load_2addr_b32 v[14:15], v19 offset1:13
	ds_load_b32 v6, v19 offset:104
	s_wait_dscnt 0x1
	v_lshrrev_b32_e32 v7, 16, v15
	s_wait_dscnt 0x0
	v_lshrrev_b32_e32 v12, 16, v6
	v_lshrrev_b32_e32 v21, 16, v14
	s_wait_loadcnt 0x0
	v_lshrrev_b32_e32 v17, 16, v2
	v_lshrrev_b32_e32 v18, 16, v3
	s_delay_alu instid0(VALU_DEP_2) | instskip(NEXT) | instid1(VALU_DEP_2)
	v_mul_f16_e32 v16, v7, v17
	v_mul_f16_e32 v20, v12, v18
	;; [unrolled: 1-line block ×4, first 2 shown]
	s_delay_alu instid0(VALU_DEP_4) | instskip(NEXT) | instid1(VALU_DEP_4)
	v_fma_f16 v15, v15, v2, -v16
	v_fma_f16 v6, v6, v3, -v20
	s_delay_alu instid0(VALU_DEP_4) | instskip(NEXT) | instid1(VALU_DEP_4)
	v_fmac_f16_e32 v40, v7, v2
	v_fmac_f16_e32 v41, v12, v3
	s_delay_alu instid0(VALU_DEP_4) | instskip(NEXT) | instid1(VALU_DEP_4)
	v_add_f16_e32 v12, v14, v15
	v_add_f16_e32 v7, v15, v6
	s_delay_alu instid0(VALU_DEP_4) | instskip(NEXT) | instid1(VALU_DEP_4)
	v_add_f16_e32 v20, v21, v40
	v_add_f16_e32 v16, v40, v41
	v_sub_f16_e32 v42, v40, v41
	v_sub_f16_e32 v15, v15, v6
	v_fmac_f16_e32 v14, -0.5, v7
	v_add_f16_e32 v6, v12, v6
	v_fmac_f16_e32 v21, -0.5, v16
	v_add_f16_e32 v20, v20, v41
	v_lshl_add_u32 v16, v0, 2, v27
	v_fmamk_f16 v7, v42, 0x3aee, v14
	v_fmac_f16_e32 v14, 0xbaee, v42
	v_fmamk_f16 v40, v15, 0xbaee, v21
	v_fmac_f16_e32 v21, 0x3aee, v15
	v_pack_b32_f16 v12, v6, v20
	s_delay_alu instid0(VALU_DEP_3) | instskip(NEXT) | instid1(VALU_DEP_3)
	v_pack_b32_f16 v15, v7, v40
	v_pack_b32_f16 v41, v14, v21
	ds_store_2addr_b32 v16, v12, v15 offset1:13
	ds_store_b32 v16, v41 offset:104
	global_wb scope:SCOPE_SE
	s_wait_dscnt 0x0
	s_barrier_signal -1
	s_barrier_wait -1
	global_inv scope:SCOPE_SE
	s_and_saveexec_b32 s2, vcc_lo
	s_cbranch_execz .LBB0_9
; %bb.8:
	s_add_nc_u64 s[0:1], s[24:25], 0x9c
	s_clause 0xc
	global_load_b32 v12, v24, s[24:25] offset:156
	global_load_b32 v15, v24, s[0:1] offset:12
	;; [unrolled: 1-line block ×13, first 2 shown]
	ds_load_2addr_b32 v[41:42], v16 offset1:3
	ds_load_2addr_b32 v[43:44], v16 offset0:6 offset1:9
	ds_load_2addr_b32 v[45:46], v16 offset0:12 offset1:15
	;; [unrolled: 1-line block ×5, first 2 shown]
	ds_load_b32 v64, v16 offset:144
	s_wait_dscnt 0x6
	v_lshrrev_b32_e32 v65, 16, v41
	v_lshrrev_b32_e32 v66, 16, v42
	s_wait_dscnt 0x5
	v_lshrrev_b32_e32 v67, 16, v43
	v_lshrrev_b32_e32 v68, 16, v44
	;; [unrolled: 3-line block ×6, first 2 shown]
	s_wait_dscnt 0x0
	v_lshrrev_b32_e32 v77, 16, v64
	s_wait_loadcnt 0xc
	v_lshrrev_b32_e32 v78, 16, v12
	s_wait_loadcnt 0xb
	;; [unrolled: 2-line block ×13, first 2 shown]
	v_lshrrev_b32_e32 v90, 16, v63
	v_mul_f16_e32 v91, v65, v78
	v_mul_f16_e32 v78, v41, v78
	;; [unrolled: 1-line block ×26, first 2 shown]
	v_fma_f16 v41, v41, v12, -v91
	v_fmac_f16_e32 v78, v65, v12
	v_fma_f16 v12, v42, v15, -v92
	v_fmac_f16_e32 v79, v66, v15
	;; [unrolled: 2-line block ×13, first 2 shown]
	v_pack_b32_f16 v41, v41, v78
	v_pack_b32_f16 v12, v12, v79
	;; [unrolled: 1-line block ×13, first 2 shown]
	ds_store_2addr_b32 v16, v41, v12 offset1:3
	ds_store_2addr_b32 v16, v15, v42 offset0:6 offset1:9
	ds_store_2addr_b32 v16, v43, v44 offset0:12 offset1:15
	ds_store_2addr_b32 v16, v45, v46 offset0:18 offset1:21
	ds_store_2addr_b32 v16, v47, v48 offset0:24 offset1:27
	ds_store_2addr_b32 v16, v49, v50 offset0:30 offset1:33
	ds_store_b32 v16, v51 offset:144
.LBB0_9:
	s_wait_alu 0xfffe
	s_or_b32 exec_lo, exec_lo, s2
	v_lshrrev_b32_e32 v15, 16, v37
	global_wb scope:SCOPE_SE
	s_wait_dscnt 0x0
	s_barrier_signal -1
	s_barrier_wait -1
	global_inv scope:SCOPE_SE
	s_and_saveexec_b32 s0, vcc_lo
	s_cbranch_execz .LBB0_11
; %bb.10:
	ds_load_2addr_b32 v[6:7], v16 offset1:3
	ds_load_2addr_b32 v[12:13], v16 offset0:6 offset1:9
	ds_load_2addr_b32 v[10:11], v16 offset0:12 offset1:15
	;; [unrolled: 1-line block ×5, first 2 shown]
	ds_load_b32 v29, v16 offset:144
	s_wait_dscnt 0x6
	v_lshrrev_b32_e32 v20, 16, v6
	v_lshrrev_b32_e32 v40, 16, v7
	s_wait_dscnt 0x5
	v_lshrrev_b32_e32 v21, 16, v12
	v_lshrrev_b32_e32 v33, 16, v13
	;; [unrolled: 3-line block ×6, first 2 shown]
	s_wait_dscnt 0x0
	v_bfi_b32 v39, 0xffff, v14, v29
	v_mov_b32_e32 v14, v12
.LBB0_11:
	s_wait_alu 0xfffe
	s_or_b32 exec_lo, exec_lo, s0
	global_wb scope:SCOPE_SE
	s_barrier_signal -1
	s_barrier_wait -1
	global_inv scope:SCOPE_SE
	s_and_saveexec_b32 s0, vcc_lo
	s_cbranch_execz .LBB0_13
; %bb.12:
	v_lshrrev_b32_e32 v58, 16, v39
	v_sub_f16_e32 v44, v7, v29
	v_add_f16_e32 v100, v30, v21
	v_sub_f16_e32 v42, v14, v5
	v_add_f16_e32 v87, v31, v33
	v_add_f16_e32 v108, v58, v40
	v_sub_f16_e32 v43, v13, v4
	v_mul_f16_e32 v63, 0x3b15, v100
	v_sub_f16_e32 v88, v10, v9
	v_mul_f16_e32 v60, 0xb9fd, v87
	v_mul_f16_e32 v62, 0xbbc4, v108
	v_sub_f16_e32 v111, v40, v58
	v_fmamk_f16 v48, v42, 0xb770, v63
	v_add_f16_e32 v41, v35, v32
	v_sub_f16_e32 v76, v11, v8
	v_fmamk_f16 v47, v44, 0x33a8, v62
	v_add_f16_e32 v46, v29, v7
	v_sub_f16_e32 v107, v21, v30
	v_mul_f16_e32 v61, 0x3a95, v88
	v_fmamk_f16 v50, v43, 0x394e, v60
	v_add_f16_e32 v49, v20, v47
	v_mul_f16_e32 v73, 0xb3a8, v111
	v_add_f16_e32 v12, v38, v34
	v_add_f16_e32 v45, v5, v14
	v_mul_f16_e32 v59, 0xbb7b, v76
	v_add_f16_e32 v48, v48, v49
	v_mul_f16_e32 v71, 0x3770, v107
	v_fma_f16 v49, v41, 0x388b, -v61
	v_fmamk_f16 v51, v46, 0xbbc4, v73
	v_sub_f16_e32 v109, v33, v31
	v_add_f16_e32 v48, v50, v48
	v_add_f16_e32 v47, v4, v13
	v_fma_f16 v50, v12, 0xb5ac, -v59
	v_fmamk_f16 v52, v45, 0x3b15, v71
	v_add_f16_e32 v51, v6, v51
	v_add_f16_e32 v48, v49, v48
	v_mul_f16_e32 v65, 0xb94e, v109
	v_sub_f16_e32 v110, v35, v32
	v_sub_f16_e32 v104, v39, v15
	v_add_f16_e32 v49, v52, v51
	v_add_f16_e32 v53, v50, v48
	v_fmamk_f16 v51, v47, 0xb9fd, v65
	v_add_f16_e32 v50, v10, v9
	v_mul_f16_e32 v69, 0x3a95, v110
	v_sub_f16_e32 v112, v38, v34
	v_add_f16_e32 v48, v37, v36
	v_mul_f16_e32 v64, 0x3bf1, v104
	v_add_f16_e32 v49, v51, v49
	v_fmamk_f16 v52, v50, 0x388b, v69
	v_add_f16_e32 v51, v11, v8
	v_mul_f16_e32 v70, 0xbb7b, v112
	v_sub_f16_e32 v113, v37, v36
	v_fma_f16 v54, v48, 0x2fb7, -v64
	v_add_f16_e32 v55, v52, v49
	v_mul_f16_e32 v83, 0xb9fd, v108
	v_fmamk_f16 v56, v51, 0xb5ac, v70
	v_add_f16_e32 v52, v39, v15
	v_mul_f16_e32 v74, 0x3bf1, v113
	v_add_f16_e32 v49, v54, v53
	v_fmamk_f16 v53, v44, 0x394e, v83
	v_mul_f16_e32 v84, 0x2fb7, v100
	v_add_f16_e32 v54, v56, v55
	v_fmamk_f16 v55, v52, 0x2fb7, v74
	;; [unrolled: 3-line block ×6, first 2 shown]
	v_mul_f16_e32 v66, 0xba95, v109
	v_add_f16_e32 v55, v56, v55
	v_fma_f16 v56, v41, 0xbbc4, -v93
	v_mul_f16_e32 v80, 0x3770, v76
	v_add_f16_e32 v54, v57, v54
	v_fmamk_f16 v57, v47, 0x388b, v66
	v_mul_f16_e32 v67, 0x33a8, v110
	v_add_f16_e32 v55, v56, v55
	v_fma_f16 v56, v12, 0x3b15, -v80
	v_mul_f16_e32 v81, 0xbb7b, v104
	v_add_f16_e32 v54, v57, v54
	v_fmamk_f16 v57, v50, 0xbbc4, v67
	;; [unrolled: 6-line block ×3, first 2 shown]
	v_mul_f16_e32 v72, 0xbb7b, v113
	v_add_f16_e32 v54, v56, v55
	v_fmamk_f16 v55, v44, 0x3b7b, v91
	v_mul_f16_e32 v82, 0xb9fd, v100
	v_add_f16_e32 v56, v78, v57
	v_fmamk_f16 v57, v52, 0xb5ac, v72
	;; [unrolled: 3-line block ×6, first 2 shown]
	v_mul_f16_e32 v99, 0x3770, v109
	v_add_f16_e32 v57, v78, v57
	v_fma_f16 v78, v41, 0x2fb7, -v95
	v_mul_f16_e32 v96, 0x33a8, v76
	v_add_f16_e32 v56, v79, v56
	v_fmamk_f16 v79, v47, 0x3b15, v99
	v_mul_f16_e32 v101, 0xbbf1, v110
	v_add_f16_e32 v57, v78, v57
	v_fma_f16 v85, v12, 0xbbc4, -v96
	v_mul_f16_e32 v78, 0x3a95, v104
	v_add_f16_e32 v56, v79, v56
	v_fmamk_f16 v79, v50, 0x2fb7, v101
	;; [unrolled: 6-line block ×3, first 2 shown]
	v_mul_f16_e32 v85, 0x3a95, v113
	v_add_f16_e32 v56, v89, v57
	v_fmamk_f16 v57, v44, 0x3bf1, v86
	v_mul_f16_e32 v79, 0xbbc4, v100
	v_add_f16_e32 v90, v103, v90
	v_fmamk_f16 v103, v52, 0x388b, v85
	v_mul_f16_e32 v105, 0xbbf1, v111
	v_add_f16_e32 v7, v7, v6
	v_add_f16_e32 v114, v20, v57
	v_fmamk_f16 v115, v42, 0x33a8, v79
	v_mul_f16_e32 v89, 0xb5ac, v87
	v_add_f16_e32 v57, v103, v90
	v_fmamk_f16 v103, v46, 0x2fb7, v105
	v_mul_f16_e32 v106, 0xb3a8, v107
	v_add_f16_e32 v7, v14, v7
	;; [unrolled: 7-line block ×3, first 2 shown]
	v_add_f16_e32 v114, v115, v114
	v_fma_f16 v115, v41, 0x3b15, -v90
	v_add_f16_e32 v116, v117, v116
	v_mul_f16_e32 v117, 0xba95, v76
	v_fmamk_f16 v14, v47, 0xb5ac, v103
	v_mul_f16_e32 v118, 0x3770, v110
	v_add_f16_e32 v7, v10, v7
	v_add_f16_e32 v114, v115, v114
	v_fma_f16 v115, v12, 0x388b, -v117
	v_add_f16_e32 v13, v14, v116
	v_fmamk_f16 v14, v50, 0x3b15, v118
	v_mul_f16_e32 v119, 0x388b, v108
	v_add_f16_e32 v7, v11, v7
	v_add_f16_e32 v10, v115, v114
	v_mul_f16_e32 v114, 0xb5ac, v100
	v_add_f16_e32 v13, v14, v13
	v_fmamk_f16 v14, v44, 0x3a95, v119
	v_add_f16_e32 v7, v39, v7
	v_mul_f16_e32 v116, 0xba95, v112
	v_mul_f16_e32 v120, 0xb94e, v104
	;; [unrolled: 1-line block ×3, first 2 shown]
	v_add_f16_e32 v11, v20, v14
	v_fmamk_f16 v14, v42, 0x3b7b, v114
	v_add_f16_e32 v7, v15, v7
	v_fmamk_f16 v115, v51, 0x388b, v116
	v_mul_f16_e32 v121, 0xb94e, v113
	v_fma_f16 v123, v48, 0xb9fd, -v120
	v_add_f16_e32 v11, v14, v11
	v_fmamk_f16 v14, v43, 0x33a8, v122
	v_mul_f16_e32 v124, 0x394e, v88
	v_add_f16_e32 v7, v8, v7
	v_add_f16_e32 v13, v115, v13
	v_fmamk_f16 v115, v52, 0xb9fd, v121
	v_add_f16_e32 v10, v123, v10
	v_mul_f16_e32 v123, 0xba95, v111
	v_add_f16_e32 v11, v14, v11
	v_fma_f16 v14, v41, 0xb9fd, -v124
	v_add_f16_e32 v7, v9, v7
	v_add_f16_e32 v13, v115, v13
	v_fmamk_f16 v39, v46, 0x388b, v123
	v_mul_f16_e32 v115, 0xbb7b, v107
	v_add_f16_e32 v11, v14, v11
	v_mul_f16_e32 v14, 0x3bf1, v76
	v_add_f16_e32 v4, v4, v7
	v_add_f16_e32 v15, v6, v39
	v_fmamk_f16 v39, v45, 0xb5ac, v115
	v_mul_f16_e32 v125, 0xb3a8, v109
	v_fma_f16 v8, v12, 0x2fb7, -v14
	v_mul_f16_e32 v126, 0x3770, v104
	v_add_f16_e32 v4, v5, v4
	v_add_f16_e32 v5, v40, v20
	;; [unrolled: 1-line block ×3, first 2 shown]
	v_fmamk_f16 v39, v47, 0xbbc4, v125
	v_mul_f16_e32 v127, 0x394e, v110
	v_add_f16_e32 v8, v8, v11
	v_fma_f16 v9, v48, 0x3b15, -v126
	v_add_f16_e32 v5, v21, v5
	v_add_f16_e32 v11, v39, v15
	v_fmamk_f16 v15, v50, 0xb9fd, v127
	v_mul_f16_e32 v40, 0x388b, v100
	v_add_f16_e32 v7, v9, v8
	v_mul_f16_e32 v8, 0x3b15, v108
	v_add_f16_e32 v5, v33, v5
	v_add_f16_e32 v9, v15, v11
	v_fmamk_f16 v21, v42, 0x3a95, v40
	v_mul_f16_e32 v100, 0xb770, v111
	v_fmamk_f16 v15, v44, 0x3770, v8
	v_add_f16_e32 v5, v35, v5
	v_mul_f16_e32 v33, 0x2fb7, v87
	v_mul_f16_e32 v87, 0xba95, v107
	v_fmac_f16_e32 v83, 0xb94e, v44
	v_add_f16_e32 v15, v20, v15
	v_add_f16_e32 v5, v38, v5
	v_mul_f16_e32 v38, 0xbbf1, v109
	v_fmamk_f16 v107, v45, 0x388b, v87
	v_fmac_f16_e32 v84, 0x3bf1, v42
	v_add_f16_e32 v15, v21, v15
	v_fmamk_f16 v21, v46, 0x3b15, v100
	v_add_f16_e32 v5, v37, v5
	v_fmamk_f16 v37, v47, 0x2fb7, v38
	v_fmac_f16_e32 v92, 0xba95, v43
	v_fmac_f16_e32 v93, 0xbbc4, v41
	v_add_f16_e32 v21, v6, v21
	v_add_f16_e32 v5, v36, v5
	v_fmac_f16_e32 v80, 0x3b15, v12
	v_fmac_f16_e32 v62, 0xb3a8, v44
	v_add_f16_e32 v4, v29, v4
	v_add_f16_e32 v21, v107, v21
	v_mul_f16_e32 v107, 0xbb7b, v110
	v_add_f16_e32 v5, v34, v5
	v_mul_f16_e32 v34, 0xb3a8, v104
	v_mul_f16_e32 v104, 0xb3a8, v113
	v_add_f16_e32 v21, v37, v21
	v_fmamk_f16 v36, v50, 0xb5ac, v107
	v_mul_f16_e32 v37, 0xb94e, v112
	v_add_f16_e32 v5, v32, v5
	v_fmamk_f16 v32, v52, 0xbbc4, v104
	v_add_f16_e32 v29, v20, v62
	v_add_f16_e32 v21, v36, v21
	v_fmamk_f16 v36, v51, 0xb9fd, v37
	v_add_f16_e32 v5, v31, v5
	v_fma_f16 v31, v46, 0xbbc4, -v73
	v_fmac_f16_e32 v63, 0x3770, v42
	v_fmac_f16_e32 v60, 0xb94e, v43
	v_add_f16_e32 v21, v36, v21
	v_add_f16_e32 v5, v30, v5
	;; [unrolled: 1-line block ×3, first 2 shown]
	v_fma_f16 v31, v45, 0x3b15, -v71
	v_fma_f16 v36, v46, 0xb9fd, -v77
	v_add_f16_e32 v21, v32, v21
	v_add_f16_e32 v32, v20, v83
	;; [unrolled: 1-line block ×4, first 2 shown]
	v_fma_f16 v31, v47, 0xb9fd, -v65
	v_fmac_f16_e32 v61, 0x388b, v41
	v_add_f16_e32 v32, v84, v32
	v_add_f16_e32 v29, v60, v29
	v_fmac_f16_e32 v59, 0xb5ac, v12
	v_add_f16_e32 v30, v31, v30
	v_fma_f16 v31, v50, 0x388b, -v69
	v_add_f16_e32 v32, v92, v32
	v_add_f16_e32 v29, v61, v29
	v_fma_f16 v61, v45, 0xbbc4, -v106
	v_fma_f16 v60, v45, 0xb9fd, -v98
	v_add_f16_e32 v30, v31, v30
	v_fma_f16 v31, v51, 0xb5ac, -v70
	v_add_f16_e32 v32, v93, v32
	v_add_f16_e32 v29, v59, v29
	v_fma_f16 v59, v46, 0xb5ac, -v97
	v_fmac_f16_e32 v91, 0xbb7b, v44
	v_add_f16_e32 v30, v31, v30
	v_fma_f16 v31, v52, 0x2fb7, -v74
	v_fmamk_f16 v35, v43, 0x3bf1, v33
	v_add_f16_e32 v59, v6, v59
	v_mul_f16_e32 v88, 0xbb7b, v88
	v_fmac_f16_e32 v86, 0xbbf1, v44
	v_add_f16_e32 v30, v31, v30
	v_add_f16_e32 v31, v80, v32
	;; [unrolled: 1-line block ×3, first 2 shown]
	v_fma_f16 v36, v45, 0x2fb7, -v75
	v_add_f16_e32 v59, v60, v59
	v_fma_f16 v60, v47, 0x3b15, -v99
	v_fmac_f16_e32 v119, 0xba95, v44
	v_fmac_f16_e32 v8, 0xb770, v44
	v_add_f16_e32 v32, v36, v32
	v_fma_f16 v36, v47, 0x388b, -v66
	v_add_f16_e32 v59, v60, v59
	v_fma_f16 v60, v50, 0x2fb7, -v101
	v_fma_f16 v44, v46, 0x3b15, -v100
	v_add_f16_e32 v5, v58, v5
	v_add_f16_e32 v32, v36, v32
	v_fma_f16 v36, v50, 0xbbc4, -v67
	v_add_f16_e32 v59, v60, v59
	v_fma_f16 v60, v51, 0xbbc4, -v102
	v_add_f16_e32 v58, v20, v91
	v_fmac_f16_e32 v82, 0x394e, v42
	v_add_f16_e32 v32, v36, v32
	v_fma_f16 v36, v51, 0x3b15, -v68
	v_add_f16_e32 v15, v35, v15
	v_fma_f16 v35, v41, 0xb5ac, -v88
	v_add_f16_e32 v59, v60, v59
	v_add_f16_e32 v60, v20, v86
	v_add_f16_e32 v32, v36, v32
	v_fma_f16 v36, v52, 0xb5ac, -v72
	v_fmac_f16_e32 v79, 0xb3a8, v42
	v_add_f16_e32 v63, v20, v119
	v_fmac_f16_e32 v114, 0xbb7b, v42
	v_add_f16_e32 v8, v20, v8
	v_add_f16_e32 v32, v36, v32
	v_fma_f16 v36, v46, 0x2fb7, -v105
	v_fmac_f16_e32 v40, 0xba95, v42
	v_fma_f16 v20, v45, 0x388b, -v87
	v_mul_f16_e32 v39, 0x3bf1, v112
	v_add_f16_e32 v58, v82, v58
	v_add_f16_e32 v36, v6, v36
	v_fmac_f16_e32 v94, 0x3770, v43
	v_add_f16_e32 v15, v35, v15
	v_mul_f16_e32 v35, 0xb94e, v76
	v_add_f16_e32 v60, v79, v60
	v_add_f16_e32 v36, v61, v36
	v_fma_f16 v61, v47, 0xb5ac, -v103
	v_fmac_f16_e32 v89, 0x3b7b, v43
	v_add_f16_e32 v63, v114, v63
	v_fmac_f16_e32 v122, 0xb3a8, v43
	v_add_f16_e32 v8, v40, v8
	v_add_f16_e32 v36, v61, v36
	v_fma_f16 v61, v50, 0x3b15, -v118
	v_fmac_f16_e32 v33, 0xbbf1, v43
	v_fmamk_f16 v11, v51, 0x2fb7, v39
	v_add_f16_e32 v58, v94, v58
	v_fmac_f16_e32 v95, 0x2fb7, v41
	v_add_f16_e32 v36, v61, v36
	v_fma_f16 v61, v51, 0x388b, -v116
	v_fma_f16 v76, v12, 0xb9fd, -v35
	v_add_f16_e32 v60, v89, v60
	v_fmac_f16_e32 v90, 0x3b15, v41
	v_add_f16_e32 v63, v122, v63
	v_add_f16_e32 v36, v61, v36
	v_fma_f16 v61, v52, 0xb9fd, -v121
	v_fmac_f16_e32 v124, 0xb9fd, v41
	v_fma_f16 v40, v50, 0xb9fd, -v127
	v_add_f16_e32 v8, v33, v8
	v_fmac_f16_e32 v88, 0xb5ac, v41
	v_add_f16_e32 v36, v61, v36
	v_fma_f16 v61, v46, 0x388b, -v123
	v_add_f16_e32 v9, v11, v9
	v_mul_f16_e32 v11, 0x3770, v113
	v_add_f16_e32 v58, v95, v58
	v_fmac_f16_e32 v96, 0xbbc4, v12
	v_add_f16_e32 v46, v6, v61
	v_fma_f16 v61, v45, 0xb5ac, -v115
	v_add_f16_e32 v6, v6, v44
	v_fma_f16 v44, v47, 0xbbc4, -v125
	;; [unrolled: 2-line block ×3, first 2 shown]
	v_add_f16_e32 v42, v61, v46
	v_add_f16_e32 v6, v20, v6
	v_fma_f16 v20, v47, 0x2fb7, -v38
	v_add_f16_e32 v60, v90, v60
	v_fmac_f16_e32 v117, 0x388b, v12
	v_add_f16_e32 v38, v44, v42
	v_add_f16_e32 v63, v124, v63
	;; [unrolled: 1-line block ×3, first 2 shown]
	v_fma_f16 v20, v50, 0xb5ac, -v107
	v_fmac_f16_e32 v14, 0x2fb7, v12
	v_add_f16_e32 v33, v40, v38
	v_fma_f16 v38, v51, 0x2fb7, -v39
	v_add_f16_e32 v8, v88, v8
	v_fmac_f16_e32 v35, 0xb9fd, v12
	v_add_f16_e32 v6, v20, v6
	v_fma_f16 v12, v51, 0xb9fd, -v37
	v_fmamk_f16 v108, v52, 0x3b15, v11
	v_fmac_f16_e32 v64, 0x2fb7, v48
	v_fmac_f16_e32 v81, 0xb5ac, v48
	v_add_f16_e32 v58, v96, v58
	v_fmac_f16_e32 v78, 0x388b, v48
	v_fma_f16 v62, v52, 0x388b, -v85
	v_add_f16_e32 v15, v76, v15
	v_add_f16_e32 v60, v117, v60
	v_fmac_f16_e32 v120, 0xb9fd, v48
	v_add_f16_e32 v14, v14, v63
	v_fmac_f16_e32 v126, 0x3b15, v48
	v_add_f16_e32 v20, v38, v33
	v_fma_f16 v11, v52, 0x3b15, -v11
	v_add_f16_e32 v8, v35, v8
	v_fmac_f16_e32 v34, 0xbbc4, v48
	v_add_f16_e32 v6, v12, v6
	v_fma_f16 v12, v52, 0xbbc4, -v104
	v_and_b32_e32 v28, 0xffff, v28
	v_add_f16_e32 v9, v108, v9
	v_add_f16_e32 v29, v64, v29
	;; [unrolled: 1-line block ×10, first 2 shown]
	v_lshl_add_u32 v12, v28, 2, v27
	v_pack_b32_f16 v15, v21, v15
	v_pack_b32_f16 v4, v4, v5
	;; [unrolled: 1-line block ×13, first 2 shown]
	ds_store_2addr_b32 v12, v4, v15 offset1:1
	ds_store_2addr_b32 v12, v7, v5 offset0:2 offset1:3
	ds_store_2addr_b32 v12, v10, v9 offset0:4 offset1:5
	;; [unrolled: 1-line block ×5, first 2 shown]
	ds_store_b32 v12, v6 offset:48
.LBB0_13:
	s_wait_alu 0xfffe
	s_or_b32 exec_lo, exec_lo, s0
	global_wb scope:SCOPE_SE
	s_wait_dscnt 0x0
	s_barrier_signal -1
	s_barrier_wait -1
	global_inv scope:SCOPE_SE
	ds_load_2addr_b32 v[4:5], v19 offset1:13
	ds_load_b32 v6, v19 offset:104
	s_wait_dscnt 0x1
	v_lshrrev_b32_e32 v7, 16, v5
	s_wait_dscnt 0x0
	v_lshrrev_b32_e32 v8, 16, v6
	v_mul_f16_e32 v9, v17, v5
	v_mul_f16_e32 v10, v18, v6
	;; [unrolled: 1-line block ×3, first 2 shown]
	s_delay_alu instid0(VALU_DEP_4) | instskip(NEXT) | instid1(VALU_DEP_4)
	v_mul_f16_e32 v12, v18, v8
	v_fma_f16 v7, v2, v7, -v9
	s_delay_alu instid0(VALU_DEP_4) | instskip(SKIP_3) | instid1(VALU_DEP_4)
	v_fma_f16 v8, v3, v8, -v10
	v_lshrrev_b32_e32 v9, 16, v4
	v_fmac_f16_e32 v11, v2, v5
	v_fmac_f16_e32 v12, v3, v6
	v_add_f16_e32 v2, v7, v8
	s_delay_alu instid0(VALU_DEP_4) | instskip(NEXT) | instid1(VALU_DEP_4)
	v_add_f16_e32 v3, v9, v7
	v_add_f16_e32 v6, v4, v11
	s_delay_alu instid0(VALU_DEP_4)
	v_add_f16_e32 v5, v11, v12
	v_sub_f16_e32 v7, v7, v8
	v_fmac_f16_e32 v9, -0.5, v2
	v_sub_f16_e32 v2, v11, v12
	v_add_f16_e32 v3, v3, v8
	v_fmac_f16_e32 v4, -0.5, v5
	v_add_f16_e32 v5, v6, v12
	s_delay_alu instid0(VALU_DEP_4) | instskip(SKIP_1) | instid1(VALU_DEP_4)
	v_fmamk_f16 v6, v2, 0x3aee, v9
	v_fmac_f16_e32 v9, 0xbaee, v2
	v_fmamk_f16 v2, v7, 0xbaee, v4
	v_fmac_f16_e32 v4, 0x3aee, v7
	v_pack_b32_f16 v3, v5, v3
	s_delay_alu instid0(VALU_DEP_3) | instskip(NEXT) | instid1(VALU_DEP_3)
	v_pack_b32_f16 v2, v2, v6
	v_pack_b32_f16 v4, v4, v9
	ds_store_2addr_b32 v16, v3, v2 offset1:13
	ds_store_b32 v16, v4 offset:104
	global_wb scope:SCOPE_SE
	s_wait_dscnt 0x0
	s_barrier_signal -1
	s_barrier_wait -1
	global_inv scope:SCOPE_SE
	s_and_b32 exec_lo, exec_lo, vcc_lo
	s_cbranch_execz .LBB0_15
; %bb.14:
	s_clause 0x6
	global_load_b32 v2, v24, s[24:25]
	global_load_b32 v3, v24, s[24:25] offset:12
	global_load_b32 v4, v24, s[24:25] offset:24
	;; [unrolled: 1-line block ×6, first 2 shown]
	v_mad_co_u64_u32 v[9:10], null, s22, v1, 0
	v_lshl_add_u32 v8, v26, 2, v24
	ds_load_b32 v31, v16
	v_mad_co_u64_u32 v[15:16], null, s20, v0, 0
	s_mov_b32 s28, 0x1a41a41a
	ds_load_2addr_b32 v[17:18], v8 offset0:3 offset1:6
	v_mov_b32_e32 v7, v10
	ds_load_2addr_b32 v[19:20], v8 offset0:9 offset1:12
	ds_load_2addr_b32 v[26:27], v8 offset0:15 offset1:18
	s_mov_b32 s29, 0x3f9a41a4
	v_mov_b32_e32 v10, v16
	v_mad_co_u64_u32 v[28:29], null, s23, v1, v[7:8]
	s_mul_u64 s[26:27], s[20:21], 12
	s_delay_alu instid0(VALU_DEP_2)
	v_mad_co_u64_u32 v[29:30], null, s21, v0, v[10:11]
	s_clause 0x3
	global_load_b32 v14, v24, s[24:25] offset:84
	global_load_b32 v13, v24, s[24:25] offset:96
	;; [unrolled: 1-line block ×4, first 2 shown]
	v_mad_co_u64_u32 v[0:1], null, s20, v25, 0
	v_mov_b32_e32 v10, v28
	s_wait_dscnt 0x3
	v_lshrrev_b32_e32 v7, 16, v31
	v_mov_b32_e32 v16, v29
	s_wait_dscnt 0x2
	v_lshrrev_b32_e32 v30, 16, v17
	v_lshrrev_b32_e32 v32, 16, v18
	s_wait_dscnt 0x1
	v_lshrrev_b32_e32 v34, 16, v19
	v_lshrrev_b32_e32 v35, 16, v20
	;; [unrolled: 3-line block ×3, first 2 shown]
	s_wait_loadcnt 0xa
	v_lshrrev_b32_e32 v28, 16, v2
	s_wait_loadcnt 0x9
	v_lshrrev_b32_e32 v29, 16, v3
	;; [unrolled: 2-line block ×5, first 2 shown]
	v_mul_f16_e32 v37, v7, v28
	v_mul_f16_e32 v28, v31, v28
	;; [unrolled: 1-line block ×5, first 2 shown]
	v_fmac_f16_e32 v37, v31, v2
	v_mul_f16_e32 v31, v30, v29
	v_fma_f16 v2, v2, v7, -v28
	v_fmac_f16_e32 v42, v18, v4
	s_wait_loadcnt 0x5
	v_lshrrev_b32_e32 v40, 16, v21
	v_cvt_f32_f16_e32 v7, v37
	v_fmac_f16_e32 v31, v17, v3
	v_fma_f16 v30, v3, v30, -v41
	v_cvt_f32_f16_e32 v41, v42
	v_mul_f16_e32 v37, v34, v38
	v_cvt_f64_f32_e32 v[28:29], v7
	v_cvt_f32_f16_e32 v17, v31
	v_mul_f16_e32 v7, v19, v38
	v_mul_f16_e32 v38, v35, v39
	v_fma_f16 v4, v4, v32, -v33
	v_cvt_f64_f32_e32 v[32:33], v41
	v_cvt_f64_f32_e32 v[17:18], v17
	v_mul_f16_e32 v41, v36, v40
	v_cvt_f32_f16_e32 v2, v2
	v_fmac_f16_e32 v37, v19, v5
	v_fmac_f16_e32 v38, v20, v6
	v_mul_f16_e32 v39, v20, v39
	v_fmac_f16_e32 v41, v26, v21
	v_cvt_f64_f32_e32 v[2:3], v2
	v_cvt_f32_f16_e32 v4, v4
	v_mul_f16_e32 v19, v26, v40
	v_fma_f16 v7, v5, v34, -v7
	v_cvt_f32_f16_e32 v34, v37
	v_cvt_f32_f16_e32 v26, v38
	;; [unrolled: 1-line block ×3, first 2 shown]
	v_cvt_f64_f32_e32 v[4:5], v4
	v_fma_f16 v35, v6, v35, -v39
	v_cvt_f32_f16_e32 v20, v7
	v_cvt_f64_f32_e32 v[6:7], v34
	v_cvt_f64_f32_e32 v[38:39], v38
	v_cvt_f32_f16_e32 v30, v30
	v_fma_f16 v21, v21, v36, -v19
	v_cvt_f64_f32_e32 v[19:20], v20
	v_cvt_f32_f16_e32 v36, v35
	v_cvt_f64_f32_e32 v[34:35], v26
	v_cvt_f64_f32_e32 v[30:31], v30
	v_cvt_f32_f16_e32 v21, v21
	s_delay_alu instid0(VALU_DEP_4) | instskip(NEXT) | instid1(VALU_DEP_2)
	v_cvt_f64_f32_e32 v[36:37], v36
	v_cvt_f64_f32_e32 v[40:41], v21
	v_mul_f64_e32 v[28:29], s[28:29], v[28:29]
	v_mul_f64_e32 v[32:33], s[28:29], v[32:33]
	;; [unrolled: 1-line block ×4, first 2 shown]
	s_wait_loadcnt 0x4
	v_lshrrev_b32_e32 v2, 16, v52
	s_delay_alu instid0(VALU_DEP_1)
	v_mul_f16_e32 v3, v53, v2
	v_mul_f64_e32 v[46:47], s[28:29], v[4:5]
	v_mul_f16_e32 v4, v27, v2
	v_mul_f64_e32 v[50:51], s[28:29], v[6:7]
	v_mul_f64_e32 v[6:7], s[28:29], v[38:39]
	v_fmac_f16_e32 v3, v27, v52
	s_delay_alu instid0(VALU_DEP_4)
	v_fma_f16 v21, v52, v53, -v4
	v_mul_f64_e32 v[19:20], s[28:29], v[19:20]
	v_mul_f64_e32 v[26:27], s[28:29], v[34:35]
	;; [unrolled: 1-line block ×3, first 2 shown]
	v_cvt_f32_f16_e32 v5, v3
	v_mul_f64_e32 v[36:37], s[28:29], v[36:37]
	s_delay_alu instid0(VALU_DEP_2)
	v_cvt_f64_f32_e32 v[34:35], v5
	v_mul_f64_e32 v[4:5], s[28:29], v[40:41]
	v_bfe_u32 v39, v29, 20, 11
	v_and_or_b32 v28, 0x1ff, v29, v28
	v_lshrrev_b32_e32 v38, 8, v29
	v_lshrrev_b32_e32 v29, 16, v29
	v_and_or_b32 v32, 0x1ff, v33, v32
	v_bfe_u32 v53, v18, 20, 11
	v_sub_nc_u32_e32 v72, 0x3f1, v39
	v_add_nc_u32_e32 v39, 0xfffffc10, v39
	v_lshlrev_b64_e32 v[9:10], 2, v[9:10]
	v_and_or_b32 v17, 0x1ff, v18, v17
	v_sub_nc_u32_e32 v74, 0x3f1, v53
	v_add_nc_u32_e32 v53, 0xfffffc10, v53
	v_lshlrev_b64_e32 v[15:16], 2, v[15:16]
	v_and_or_b32 v40, 0x1ff, v43, v42
	v_add_co_u32 v9, vcc_lo, s4, v9
	v_add_co_ci_u32_e32 v10, vcc_lo, s5, v10, vcc_lo
	v_lshrrev_b32_e32 v41, 8, v43
	s_delay_alu instid0(VALU_DEP_3) | instskip(SKIP_1) | instid1(VALU_DEP_3)
	v_add_co_u32 v15, vcc_lo, v9, v15
	s_wait_alu 0xfffd
	v_add_co_ci_u32_e32 v16, vcc_lo, v10, v16, vcc_lo
	v_and_or_b32 v46, 0x1ff, v47, v46
	s_delay_alu instid0(VALU_DEP_3) | instskip(SKIP_1) | instid1(VALU_DEP_3)
	v_add_co_u32 v44, vcc_lo, v15, s26
	s_wait_alu 0xfffd
	v_add_co_ci_u32_e32 v45, vcc_lo, s27, v16, vcc_lo
	v_and_or_b32 v50, 0x1ff, v51, v50
	;; [unrolled: 5-line block ×3, first 2 shown]
	s_delay_alu instid0(VALU_DEP_3) | instskip(SKIP_1) | instid1(VALU_DEP_3)
	v_add_co_u32 v2, vcc_lo, v48, s26
	s_wait_alu 0xfffd
	v_add_co_ci_u32_e32 v3, vcc_lo, s27, v49, vcc_lo
	v_cmp_ne_u32_e32 vcc_lo, 0, v28
	v_and_or_b32 v19, 0x1ff, v20, v19
	v_and_or_b32 v26, 0x1ff, v27, v26
	;; [unrolled: 1-line block ×4, first 2 shown]
	s_wait_alu 0xfffd
	v_cndmask_b32_e64 v28, 0, 1, vcc_lo
	v_cmp_ne_u32_e32 vcc_lo, 0, v40
	v_and_or_b32 v4, 0x1ff, v5, v4
	v_bfe_u32 v42, v43, 20, 11
	v_lshrrev_b32_e32 v52, 8, v18
	v_and_or_b32 v28, 0xffe, v38, v28
	s_wait_alu 0xfffd
	v_cndmask_b32_e64 v40, 0, 1, vcc_lo
	v_cmp_ne_u32_e32 vcc_lo, 0, v17
	v_bfe_u32 v55, v31, 20, 11
	v_sub_nc_u32_e32 v73, 0x3f1, v42
	v_lshrrev_b32_e32 v54, 8, v31
	v_and_or_b32 v40, 0xffe, v41, v40
	s_wait_alu 0xfffd
	v_cndmask_b32_e64 v17, 0, 1, vcc_lo
	v_cmp_ne_u32_e32 vcc_lo, 0, v30
	v_bfe_u32 v57, v33, 20, 11
	v_bfe_u32 v59, v47, 20, 11
	v_add_nc_u32_e32 v42, 0xfffffc10, v42
	v_sub_nc_u32_e32 v75, 0x3f1, v55
	s_wait_alu 0xfffd
	v_cndmask_b32_e64 v30, 0, 1, vcc_lo
	v_cmp_ne_u32_e32 vcc_lo, 0, v32
	v_med3_i32 v38, v72, 0, 13
	v_med3_i32 v41, v73, 0, 13
	v_and_or_b32 v17, 0xffe, v52, v17
	v_or_b32_e32 v72, 0x1000, v28
	s_wait_alu 0xfffd
	v_cndmask_b32_e64 v32, 0, 1, vcc_lo
	v_cmp_ne_u32_e32 vcc_lo, 0, v46
	v_lshl_or_b32 v73, v39, 12, v28
	v_lshrrev_b32_e32 v56, 8, v33
	v_lshrrev_b32_e32 v58, 8, v47
	v_bfe_u32 v61, v51, 20, 11
	s_wait_alu 0xfffd
	v_cndmask_b32_e64 v46, 0, 1, vcc_lo
	v_cmp_ne_u32_e32 vcc_lo, 0, v50
	v_bfe_u32 v63, v20, 20, 11
	v_sub_nc_u32_e32 v76, 0x3f1, v57
	v_sub_nc_u32_e32 v77, 0x3f1, v59
	v_med3_i32 v52, v74, 0, 13
	s_wait_alu 0xfffd
	v_cndmask_b32_e64 v50, 0, 1, vcc_lo
	v_cmp_ne_u32_e32 vcc_lo, 0, v19
	v_and_or_b32 v30, 0xffe, v54, v30
	v_med3_i32 v54, v75, 0, 13
	v_or_b32_e32 v74, 0x1000, v40
	v_lshl_or_b32 v75, v42, 12, v40
	s_wait_alu 0xfffd
	v_cndmask_b32_e64 v19, 0, 1, vcc_lo
	v_cmp_ne_u32_e32 vcc_lo, 0, v26
	v_lshrrev_b32_e32 v60, 8, v51
	v_lshrrev_b32_e32 v62, 8, v20
	v_bfe_u32 v65, v27, 20, 11
	v_bfe_u32 v67, v37, 20, 11
	s_wait_alu 0xfffd
	v_cndmask_b32_e64 v26, 0, 1, vcc_lo
	v_cmp_ne_u32_e32 vcc_lo, 0, v36
	v_add_nc_u32_e32 v55, 0xfffffc10, v55
	v_sub_nc_u32_e32 v78, 0x3f1, v61
	v_sub_nc_u32_e32 v79, 0x3f1, v63
	v_and_or_b32 v32, 0xffe, v56, v32
	s_wait_alu 0xfffd
	v_cndmask_b32_e64 v36, 0, 1, vcc_lo
	v_cmp_ne_u32_e32 vcc_lo, 0, v6
	v_med3_i32 v56, v76, 0, 13
	v_and_or_b32 v46, 0xffe, v58, v46
	v_med3_i32 v58, v77, 0, 13
	v_or_b32_e32 v76, 0x1000, v17
	s_wait_alu 0xfffd
	v_cndmask_b32_e64 v6, 0, 1, vcc_lo
	v_cmp_ne_u32_e32 vcc_lo, 0, v4
	v_lshl_or_b32 v77, v53, 12, v17
	v_lshrrev_b32_e32 v64, 8, v27
	v_lshrrev_b32_e32 v66, 8, v37
	v_bfe_u32 v69, v7, 20, 11
	s_wait_alu 0xfffd
	v_cndmask_b32_e64 v4, 0, 1, vcc_lo
	v_cmp_ne_u32_e32 vcc_lo, 0, v28
	v_add_nc_u32_e32 v57, 0xfffffc10, v57
	v_sub_nc_u32_e32 v80, 0x3f1, v65
	v_sub_nc_u32_e32 v81, 0x3f1, v67
	v_and_or_b32 v50, 0xffe, v60, v50
	s_wait_alu 0xfffd
	v_cndmask_b32_e64 v28, 0, 1, vcc_lo
	v_cmp_ne_u32_e32 vcc_lo, 0, v40
	v_med3_i32 v60, v78, 0, 13
	v_and_or_b32 v19, 0xffe, v62, v19
	v_med3_i32 v62, v79, 0, 13
	v_or_b32_e32 v78, 0x1000, v30
	s_wait_alu 0xfffd
	v_cndmask_b32_e64 v40, 0, 1, vcc_lo
	v_cmp_ne_u32_e32 vcc_lo, 0, v17
	v_lshl_or_b32 v79, v55, 12, v30
	v_lshrrev_b32_e32 v68, 8, v7
	v_add_nc_u32_e32 v59, 0xfffffc10, v59
	v_sub_nc_u32_e32 v82, 0x3f1, v69
	s_wait_alu 0xfffd
	v_cndmask_b32_e64 v17, 0, 1, vcc_lo
	v_cmp_ne_u32_e32 vcc_lo, 0, v30
	v_and_or_b32 v26, 0xffe, v64, v26
	v_med3_i32 v64, v80, 0, 13
	v_and_or_b32 v36, 0xffe, v66, v36
	v_med3_i32 v66, v81, 0, 13
	s_wait_alu 0xfffd
	v_cndmask_b32_e64 v30, 0, 1, vcc_lo
	v_cmp_ne_u32_e32 vcc_lo, 0, v32
	v_or_b32_e32 v80, 0x1000, v32
	v_lshl_or_b32 v81, v57, 12, v32
	v_add_nc_u32_e32 v61, 0xfffffc10, v61
	v_and_or_b32 v6, 0xffe, v68, v6
	s_wait_alu 0xfffd
	v_cndmask_b32_e64 v32, 0, 1, vcc_lo
	v_cmp_ne_u32_e32 vcc_lo, 0, v46
	v_med3_i32 v68, v82, 0, 13
	v_or_b32_e32 v82, 0x1000, v46
	v_lshl_or_b32 v83, v59, 12, v46
	v_add_nc_u32_e32 v63, 0xfffffc10, v63
	s_wait_alu 0xfffd
	v_cndmask_b32_e64 v46, 0, 1, vcc_lo
	v_cmp_ne_u32_e32 vcc_lo, 0, v50
	v_or_b32_e32 v84, 0x1000, v50
	v_lshl_or_b32 v85, v61, 12, v50
	v_add_nc_u32_e32 v65, 0xfffffc10, v65
	v_or_b32_e32 v86, 0x1000, v19
	s_wait_alu 0xfffd
	v_cndmask_b32_e64 v50, 0, 1, vcc_lo
	v_cmp_ne_u32_e32 vcc_lo, 0, v19
	v_lshl_or_b32 v87, v63, 12, v19
	v_lshrrev_b32_e32 v93, v38, v72
	v_add_nc_u32_e32 v67, 0xfffffc10, v67
	v_or_b32_e32 v88, 0x1000, v26
	s_wait_alu 0xfffd
	v_cndmask_b32_e64 v19, 0, 1, vcc_lo
	v_cmp_ne_u32_e32 vcc_lo, 0, v26
	v_lshl_or_b32 v89, v65, 12, v26
	v_lshrrev_b32_e32 v94, v41, v74
	v_lshlrev_b32_e32 v38, v38, v93
	v_or_b32_e32 v90, 0x1000, v36
	s_wait_alu 0xfffd
	v_cndmask_b32_e64 v26, 0, 1, vcc_lo
	v_cmp_ne_u32_e32 vcc_lo, 0, v36
	v_lshl_or_b32 v91, v67, 12, v36
	v_lshrrev_b32_e32 v95, v52, v76
	v_lshlrev_b32_e32 v41, v41, v94
	v_lshrrev_b32_e32 v96, v54, v78
	s_wait_alu 0xfffd
	v_cndmask_b32_e64 v36, 0, 1, vcc_lo
	v_cmp_ne_u32_e32 vcc_lo, v38, v72
	v_lshlrev_b32_e32 v52, v52, v95
	v_lshl_or_b32 v17, v17, 9, 0x7c00
	v_lshrrev_b32_e32 v97, v56, v80
	v_lshlrev_b32_e32 v54, v54, v96
	s_wait_alu 0xfffd
	v_cndmask_b32_e64 v38, 0, 1, vcc_lo
	v_cmp_ne_u32_e32 vcc_lo, v41, v74
	v_lshrrev_b32_e32 v98, v58, v82
	v_lshl_or_b32 v46, v46, 9, 0x7c00
	v_lshlrev_b32_e32 v56, v56, v97
	v_lshrrev_b32_e32 v99, v60, v84
	s_wait_alu 0xfffd
	v_cndmask_b32_e64 v41, 0, 1, vcc_lo
	v_cmp_ne_u32_e32 vcc_lo, v52, v76
	v_lshlrev_b32_e32 v58, v58, v98
	v_lshrrev_b32_e32 v100, v62, v86
	v_lshlrev_b32_e32 v60, v60, v99
	v_lshrrev_b32_e32 v101, v64, v88
	s_wait_alu 0xfffd
	v_cndmask_b32_e64 v52, 0, 1, vcc_lo
	v_cmp_ne_u32_e32 vcc_lo, v54, v78
	v_lshlrev_b32_e32 v62, v62, v100
	v_lshl_or_b32 v19, v19, 9, 0x7c00
	v_lshrrev_b32_e32 v102, v66, v90
	v_lshlrev_b32_e32 v64, v64, v101
	s_wait_alu 0xfffd
	v_cndmask_b32_e64 v54, 0, 1, vcc_lo
	v_cmp_ne_u32_e32 vcc_lo, v56, v80
	v_or_b32_e32 v38, v93, v38
	v_lshlrev_b32_e32 v66, v66, v102
	v_or_b32_e32 v41, v94, v41
	v_or_b32_e32 v52, v95, v52
	s_wait_alu 0xfffd
	v_cndmask_b32_e64 v56, 0, 1, vcc_lo
	v_cmp_ne_u32_e32 vcc_lo, v58, v82
	v_or_b32_e32 v54, v96, v54
	v_lshl_or_b32 v28, v28, 9, 0x7c00
	v_lshl_or_b32 v40, v40, 9, 0x7c00
	v_or_b32_e32 v56, v97, v56
	s_wait_alu 0xfffd
	v_cndmask_b32_e64 v58, 0, 1, vcc_lo
	v_cmp_ne_u32_e32 vcc_lo, v60, v84
	v_lshl_or_b32 v30, v30, 9, 0x7c00
	v_bfe_u32 v71, v5, 20, 11
	v_lshl_or_b32 v32, v32, 9, 0x7c00
	v_or_b32_e32 v58, v98, v58
	s_wait_alu 0xfffd
	v_cndmask_b32_e64 v60, 0, 1, vcc_lo
	v_cmp_ne_u32_e32 vcc_lo, v62, v86
	v_lshl_or_b32 v50, v50, 9, 0x7c00
	v_lshl_or_b32 v26, v26, 9, 0x7c00
	v_lshrrev_b32_e32 v18, 16, v18
	v_or_b32_e32 v60, v99, v60
	s_wait_alu 0xfffd
	v_cndmask_b32_e64 v62, 0, 1, vcc_lo
	v_cmp_ne_u32_e32 vcc_lo, v64, v88
	v_lshrrev_b32_e32 v31, 16, v31
	v_lshrrev_b32_e32 v33, 16, v33
	v_lshrrev_b32_e32 v51, 16, v51
	v_or_b32_e32 v62, v100, v62
	s_wait_alu 0xfffd
	v_cndmask_b32_e64 v64, 0, 1, vcc_lo
	v_cmp_ne_u32_e32 vcc_lo, v66, v90
	v_lshrrev_b32_e32 v43, 16, v43
	v_lshrrev_b32_e32 v20, 16, v20
	;; [unrolled: 1-line block ×3, first 2 shown]
	v_or_b32_e32 v64, v101, v64
	s_wait_alu 0xfffd
	v_cndmask_b32_e64 v66, 0, 1, vcc_lo
	v_cmp_gt_i32_e32 vcc_lo, 1, v39
	v_lshrrev_b32_e32 v47, 16, v47
	v_lshrrev_b32_e32 v70, 8, v5
	v_or_b32_e32 v92, 0x1000, v6
	v_or_b32_e32 v66, v102, v66
	s_wait_alu 0xfffd
	v_cndmask_b32_e32 v38, v73, v38, vcc_lo
	v_cmp_gt_i32_e32 vcc_lo, 1, v42
	v_and_or_b32 v4, 0xffe, v70, v4
	v_lshrrev_b32_e32 v103, v68, v92
	v_lshl_or_b32 v36, v36, 9, 0x7c00
	s_wait_alu 0xfffd
	v_dual_cndmask_b32 v41, v75, v41 :: v_dual_and_b32 v72, 7, v38
	v_cmp_gt_i32_e32 vcc_lo, 1, v53
	v_lshrrev_b32_e32 v38, 2, v38
	v_lshlrev_b32_e32 v68, v68, v103
	s_delay_alu instid0(VALU_DEP_4)
	v_cmp_eq_u32_e64 s0, 3, v72
	s_wait_alu 0xfffd
	v_dual_cndmask_b32 v52, v77, v52 :: v_dual_and_b32 v73, 7, v41
	v_cmp_gt_i32_e32 vcc_lo, 1, v55
	v_lshrrev_b32_e32 v41, 2, v41
	v_lshrrev_b32_e32 v7, 16, v7
	s_delay_alu instid0(VALU_DEP_4)
	v_cmp_lt_i32_e64 s1, 5, v73
	v_and_b32_e32 v74, 7, v52
	s_wait_alu 0xfffd
	v_cndmask_b32_e32 v54, v79, v54, vcc_lo
	v_cmp_gt_i32_e32 vcc_lo, 1, v57
	v_cmp_eq_u32_e64 s2, 3, v73
	v_lshrrev_b32_e32 v52, 2, v52
	v_cmp_lt_i32_e64 s3, 5, v74
	s_wait_alu 0xfffd
	v_dual_cndmask_b32 v56, v81, v56 :: v_dual_and_b32 v75, 7, v54
	v_cmp_gt_i32_e32 vcc_lo, 1, v59
	v_cmp_eq_u32_e64 s4, 3, v74
	v_lshrrev_b32_e32 v54, 2, v54
	s_delay_alu instid0(VALU_DEP_4)
	v_cmp_lt_i32_e64 s5, 5, v75
	v_and_b32_e32 v76, 7, v56
	s_wait_alu 0xfffd
	v_cndmask_b32_e32 v58, v83, v58, vcc_lo
	v_cmp_gt_i32_e32 vcc_lo, 1, v61
	v_cmp_eq_u32_e64 s6, 3, v75
	v_lshrrev_b32_e32 v56, 2, v56
	v_cmp_lt_i32_e64 s7, 5, v76
	s_wait_alu 0xfffd
	v_dual_cndmask_b32 v60, v85, v60 :: v_dual_and_b32 v77, 7, v58
	v_cmp_gt_i32_e32 vcc_lo, 1, v63
	v_cmp_eq_u32_e64 s8, 3, v76
	;; [unrolled: 14-line block ×3, first 2 shown]
	v_lshrrev_b32_e32 v62, 2, v62
	s_delay_alu instid0(VALU_DEP_4)
	v_cmp_lt_i32_e64 s13, 5, v79
	v_and_b32_e32 v80, 7, v64
	s_wait_alu 0xfffd
	v_cndmask_b32_e32 v66, v91, v66, vcc_lo
	v_cmp_lt_i32_e32 vcc_lo, 5, v72
	v_cmp_eq_u32_e64 s14, 3, v79
	v_lshrrev_b32_e32 v64, 2, v64
	v_cmp_lt_i32_e64 s15, 5, v80
	v_and_b32_e32 v81, 7, v66
	s_or_b32 vcc_lo, s0, vcc_lo
	v_cmp_eq_u32_e64 s16, 3, v80
	s_wait_alu 0xfffe
	v_add_co_ci_u32_e32 v38, vcc_lo, 0, v38, vcc_lo
	s_or_b32 vcc_lo, s2, s1
	v_cmp_lt_i32_e64 s17, 5, v81
	s_wait_alu 0xfffe
	v_add_co_ci_u32_e32 v41, vcc_lo, 0, v41, vcc_lo
	s_or_b32 vcc_lo, s4, s3
	v_cmp_eq_u32_e64 s18, 3, v81
	s_wait_alu 0xfffe
	v_add_co_ci_u32_e32 v52, vcc_lo, 0, v52, vcc_lo
	s_or_b32 vcc_lo, s6, s5
	v_lshrrev_b32_e32 v66, 2, v66
	s_wait_alu 0xfffe
	v_add_co_ci_u32_e32 v54, vcc_lo, 0, v54, vcc_lo
	s_or_b32 vcc_lo, s8, s7
	s_mul_i32 s2, s21, 24
	s_wait_alu 0xfffe
	v_add_co_ci_u32_e32 v56, vcc_lo, 0, v56, vcc_lo
	s_or_b32 vcc_lo, s10, s9
	v_lshrrev_b32_e32 v5, 16, v5
	s_wait_alu 0xfffe
	v_add_co_ci_u32_e32 v58, vcc_lo, 0, v58, vcc_lo
	s_or_b32 vcc_lo, s12, s11
	s_wait_alu 0xfffe
	v_add_co_ci_u32_e32 v60, vcc_lo, 0, v60, vcc_lo
	s_or_b32 vcc_lo, s14, s13
	;; [unrolled: 3-line block ×4, first 2 shown]
	s_wait_alu 0xfffe
	v_add_co_ci_u32_e32 v66, vcc_lo, 0, v66, vcc_lo
	v_cmp_gt_i32_e32 vcc_lo, 31, v39
	s_wait_alu 0xfffd
	v_cndmask_b32_e32 v38, 0x7c00, v38, vcc_lo
	v_cmp_gt_i32_e32 vcc_lo, 31, v42
	s_wait_alu 0xfffd
	v_cndmask_b32_e32 v41, 0x7c00, v41, vcc_lo
	;; [unrolled: 3-line block ×10, first 2 shown]
	v_cmp_eq_u32_e32 vcc_lo, 0x40f, v39
	s_wait_alu 0xfffd
	v_cndmask_b32_e32 v28, v38, v28, vcc_lo
	v_cmp_eq_u32_e32 vcc_lo, 0x40f, v42
	s_delay_alu instid0(VALU_DEP_2)
	v_and_or_b32 v28, 0x8000, v29, v28
	s_wait_alu 0xfffd
	v_cndmask_b32_e32 v38, v41, v40, vcc_lo
	v_cmp_eq_u32_e32 vcc_lo, 0x40f, v53
	s_wait_alu 0xfffd
	v_cndmask_b32_e32 v17, v52, v17, vcc_lo
	v_cmp_eq_u32_e32 vcc_lo, 0x40f, v55
	s_delay_alu instid0(VALU_DEP_2) | instskip(SKIP_3) | instid1(VALU_DEP_3)
	v_and_or_b32 v17, 0x8000, v18, v17
	s_wait_alu 0xfffd
	v_cndmask_b32_e32 v30, v54, v30, vcc_lo
	v_cmp_eq_u32_e32 vcc_lo, 0x40f, v57
	v_and_b32_e32 v17, 0xffff, v17
	s_delay_alu instid0(VALU_DEP_3) | instskip(SKIP_3) | instid1(VALU_DEP_3)
	v_and_or_b32 v18, 0x8000, v31, v30
	s_wait_alu 0xfffd
	v_cndmask_b32_e32 v32, v56, v32, vcc_lo
	v_cmp_eq_u32_e32 vcc_lo, 0x40f, v59
	v_lshl_or_b32 v17, v18, 16, v17
	s_delay_alu instid0(VALU_DEP_3) | instskip(SKIP_3) | instid1(VALU_DEP_2)
	v_and_or_b32 v30, 0x8000, v33, v32
	s_wait_alu 0xfffd
	v_cndmask_b32_e32 v39, v58, v46, vcc_lo
	v_cmp_eq_u32_e32 vcc_lo, 0x40f, v61
	v_and_or_b32 v31, 0x8000, v47, v39
	s_wait_alu 0xfffd
	v_cndmask_b32_e32 v40, v60, v50, vcc_lo
	v_cmp_eq_u32_e32 vcc_lo, 0x40f, v63
	s_delay_alu instid0(VALU_DEP_2) | instskip(SKIP_3) | instid1(VALU_DEP_2)
	v_and_or_b32 v32, 0x8000, v51, v40
	s_wait_alu 0xfffd
	v_cndmask_b32_e32 v19, v62, v19, vcc_lo
	v_cmp_eq_u32_e32 vcc_lo, 0x40f, v65
	v_and_or_b32 v19, 0x8000, v20, v19
	s_wait_alu 0xfffd
	v_cndmask_b32_e32 v26, v64, v26, vcc_lo
	v_and_b32_e32 v20, 0xffff, v28
	v_and_b32_e32 v28, 0xffff, v30
	;; [unrolled: 1-line block ×3, first 2 shown]
	v_cmp_eq_u32_e32 vcc_lo, 0x40f, v67
	v_and_or_b32 v26, 0x8000, v27, v26
	v_add_nc_u32_e32 v27, 0xfffffc10, v69
	v_and_or_b32 v29, 0x8000, v43, v38
	v_lshl_or_b32 v18, v31, 16, v28
	v_lshl_or_b32 v19, v19, 16, v30
	s_delay_alu instid0(VALU_DEP_4) | instskip(NEXT) | instid1(VALU_DEP_4)
	v_lshl_or_b32 v28, v27, 12, v6
	v_lshl_or_b32 v20, v29, 16, v20
	s_clause 0x3
	global_store_b32 v[15:16], v20, off
	global_store_b32 v[44:45], v17, off
	global_store_b32 v[48:49], v18, off
	global_store_b32 v[2:3], v19, off
	v_sub_nc_u32_e32 v16, 0x3f1, v71
	v_cvt_f32_f16_e32 v17, v21
	v_or_b32_e32 v21, 0x1000, v4
	v_lshrrev_b32_e32 v29, 16, v37
	global_load_b32 v33, v24, s[24:25] offset:132
	v_med3_i32 v20, v16, 0, 13
	global_load_b32 v24, v24, s[24:25] offset:144
	v_lshrrev_b32_e32 v30, v20, v21
	s_wait_alu 0xfffd
	v_cndmask_b32_e32 v32, v66, v36, vcc_lo
	v_cmp_ne_u32_e32 vcc_lo, v68, v92
	s_delay_alu instid0(VALU_DEP_3) | instskip(NEXT) | instid1(VALU_DEP_3)
	v_lshlrev_b32_e32 v31, v20, v30
	v_and_or_b32 v29, 0x8000, v29, v32
	s_wait_alu 0xfffd
	v_cndmask_b32_e64 v15, 0, 1, vcc_lo
	v_cmp_gt_i32_e32 vcc_lo, 1, v27
	s_delay_alu instid0(VALU_DEP_2) | instskip(SKIP_3) | instid1(VALU_DEP_3)
	v_or_b32_e32 v19, v103, v15
	v_cvt_f64_f32_e32 v[15:16], v17
	v_mul_f64_e32 v[17:18], s[28:29], v[34:35]
	s_wait_alu 0xfffd
	v_cndmask_b32_e32 v28, v28, v19, vcc_lo
	v_mad_co_u64_u32 v[19:20], null, s21, v25, v[1:2]
	v_cmp_ne_u32_e32 vcc_lo, v31, v21
	v_add_nc_u32_e32 v31, 0xfffffc10, v71
	s_delay_alu instid0(VALU_DEP_4)
	v_and_b32_e32 v1, 7, v28
	v_and_b32_e32 v25, 0xffff, v26
	v_mad_co_u64_u32 v[2:3], null, s20, 24, v[2:3]
	s_wait_alu 0xfffd
	v_cndmask_b32_e64 v20, 0, 1, vcc_lo
	v_cmp_lt_i32_e32 vcc_lo, 5, v1
	v_cmp_eq_u32_e64 s0, 3, v1
	v_lshrrev_b32_e32 v1, 2, v28
	v_lshl_or_b32 v28, v31, 12, v4
	v_or_b32_e32 v26, v30, v20
	ds_load_2addr_b32 v[20:21], v8 offset0:21 offset1:24
	s_or_b32 vcc_lo, s0, vcc_lo
	v_lshl_or_b32 v29, v29, 16, v25
	s_wait_alu 0xfffe
	v_add_co_ci_u32_e32 v1, vcc_lo, 0, v1, vcc_lo
	v_cmp_ne_u32_e32 vcc_lo, 0, v6
	v_add_nc_u32_e32 v3, s2, v3
	s_wait_alu 0xfffd
	v_cndmask_b32_e64 v6, 0, 1, vcc_lo
	v_cmp_gt_i32_e32 vcc_lo, 1, v31
	s_delay_alu instid0(VALU_DEP_2)
	v_lshl_or_b32 v6, v6, 9, 0x7c00
	s_wait_alu 0xfffd
	v_cndmask_b32_e32 v26, v28, v26, vcc_lo
	v_cmp_gt_i32_e32 vcc_lo, 31, v27
	v_mul_f64_e32 v[15:16], s[28:29], v[15:16]
	v_and_or_b32 v17, 0x1ff, v18, v17
	v_lshrrev_b32_e32 v25, 8, v18
	s_wait_alu 0xfffd
	v_dual_cndmask_b32 v28, 0x7c00, v1 :: v_dual_mov_b32 v1, v19
	v_and_b32_e32 v19, 7, v26
	v_cmp_eq_u32_e32 vcc_lo, 0x40f, v27
	v_cmp_ne_u32_e64 s1, 0, v17
	s_wait_dscnt 0x0
	v_lshrrev_b32_e32 v27, 16, v20
	v_bfe_u32 v30, v18, 20, 11
	v_cmp_eq_u32_e64 s0, 3, v19
	s_wait_alu 0xfffd
	v_cndmask_b32_e32 v6, v28, v6, vcc_lo
	v_cmp_lt_i32_e32 vcc_lo, 5, v19
	v_lshrrev_b32_e32 v19, 2, v26
	s_wait_loadcnt 0x5
	v_lshrrev_b32_e32 v28, 16, v14
	s_wait_alu 0xf1ff
	v_cndmask_b32_e64 v17, 0, 1, s1
	v_and_or_b32 v6, 0x8000, v7, v6
	s_or_b32 vcc_lo, s0, vcc_lo
	v_lshlrev_b64_e32 v[0:1], 2, v[0:1]
	s_wait_alu 0xfffe
	v_add_co_ci_u32_e32 v19, vcc_lo, 0, v19, vcc_lo
	v_mul_f16_e32 v26, v27, v28
	v_and_or_b32 v17, 0xffe, v25, v17
	v_sub_nc_u32_e32 v25, 0x3f1, v30
	v_cmp_ne_u32_e32 vcc_lo, 0, v4
	v_and_b32_e32 v6, 0xffff, v6
	v_fmac_f16_e32 v26, v20, v14
	v_or_b32_e32 v32, 0x1000, v17
	v_med3_i32 v34, v25, 0, 13
	s_wait_alu 0xfffd
	v_cndmask_b32_e64 v4, 0, 1, vcc_lo
	v_cmp_gt_i32_e32 vcc_lo, 31, v31
	v_cvt_f32_f16_e32 v26, v26
	v_lshrrev_b32_e32 v18, 16, v18
	v_lshrrev_b32_e32 v35, v34, v32
	v_lshl_or_b32 v4, v4, 9, 0x7c00
	s_wait_alu 0xfffd
	v_cndmask_b32_e32 v19, 0x7c00, v19, vcc_lo
	v_cmp_eq_u32_e32 vcc_lo, 0x40f, v31
	v_cvt_f64_f32_e32 v[25:26], v26
	s_wait_alu 0xfffd
	s_delay_alu instid0(VALU_DEP_3) | instskip(SKIP_2) | instid1(VALU_DEP_3)
	v_cndmask_b32_e32 v4, v19, v4, vcc_lo
	v_mul_f16_e32 v19, v20, v28
	v_lshlrev_b32_e32 v20, v34, v35
	v_and_or_b32 v7, 0x8000, v5, v4
	v_and_or_b32 v4, 0x1ff, v16, v15
	s_delay_alu instid0(VALU_DEP_3)
	v_cmp_ne_u32_e32 vcc_lo, v20, v32
	v_fma_f16 v5, v14, v27, -v19
	v_add_nc_u32_e32 v15, 0xfffffc10, v30
	v_lshrrev_b32_e32 v20, 8, v16
	v_bfe_u32 v27, v16, 20, 11
	s_wait_alu 0xfffd
	v_cndmask_b32_e64 v14, 0, 1, vcc_lo
	v_cmp_ne_u32_e32 vcc_lo, 0, v4
	v_cvt_f32_f16_e32 v4, v5
	v_lshl_or_b32 v28, v15, 12, v17
	v_lshl_or_b32 v30, v7, 16, v6
	v_or_b32_e32 v14, v35, v14
	s_wait_alu 0xfffd
	v_cndmask_b32_e64 v19, 0, 1, vcc_lo
	v_cmp_gt_i32_e32 vcc_lo, 1, v15
	v_cvt_f64_f32_e32 v[4:5], v4
	s_delay_alu instid0(VALU_DEP_3)
	v_and_or_b32 v19, 0xffe, v20, v19
	v_sub_nc_u32_e32 v20, 0x3f1, v27
	s_wait_alu 0xfffd
	v_cndmask_b32_e32 v14, v28, v14, vcc_lo
	v_add_co_u32 v0, vcc_lo, v9, v0
	v_or_b32_e32 v28, 0x1000, v19
	v_med3_i32 v20, v20, 0, 13
	s_delay_alu instid0(VALU_DEP_4)
	v_and_b32_e32 v32, 7, v14
	s_wait_alu 0xfffd
	v_add_co_ci_u32_e32 v1, vcc_lo, v10, v1, vcc_lo
	v_lshrrev_b32_e32 v14, 2, v14
	v_lshrrev_b32_e32 v31, v20, v28
	v_cmp_lt_i32_e32 vcc_lo, 5, v32
	v_cmp_eq_u32_e64 s0, 3, v32
	v_mul_f64_e32 v[6:7], s[28:29], v[25:26]
	v_add_nc_u32_e32 v25, 0xfffffc10, v27
	v_lshlrev_b32_e32 v20, v20, v31
	v_lshrrev_b32_e32 v27, 16, v21
	s_or_b32 vcc_lo, s0, vcc_lo
	s_wait_alu 0xfffe
	v_add_co_ci_u32_e32 v14, vcc_lo, 0, v14, vcc_lo
	v_cmp_ne_u32_e64 s1, v20, v28
	v_cmp_ne_u32_e32 vcc_lo, 0, v17
	v_lshl_or_b32 v26, v25, 12, v19
	s_wait_loadcnt 0x4
	v_lshrrev_b32_e32 v28, 16, v13
	s_wait_alu 0xf1ff
	v_cndmask_b32_e64 v20, 0, 1, s1
	s_wait_alu 0xfffd
	v_cndmask_b32_e64 v17, 0, 1, vcc_lo
	v_cmp_gt_i32_e32 vcc_lo, 1, v25
	s_delay_alu instid0(VALU_DEP_3) | instskip(NEXT) | instid1(VALU_DEP_3)
	v_or_b32_e32 v20, v31, v20
	v_lshl_or_b32 v17, v17, 9, 0x7c00
	v_mul_f64_e32 v[4:5], s[28:29], v[4:5]
	s_wait_alu 0xfffd
	s_delay_alu instid0(VALU_DEP_3) | instskip(SKIP_3) | instid1(VALU_DEP_3)
	v_cndmask_b32_e32 v20, v26, v20, vcc_lo
	v_cmp_gt_i32_e32 vcc_lo, 31, v15
	v_mul_f16_e32 v26, v27, v28
	s_wait_alu 0xfffd
	v_dual_cndmask_b32 v14, 0x7c00, v14 :: v_dual_and_b32 v31, 7, v20
	v_cmp_eq_u32_e32 vcc_lo, 0x40f, v15
	s_delay_alu instid0(VALU_DEP_3) | instskip(SKIP_1) | instid1(VALU_DEP_4)
	v_fmac_f16_e32 v26, v21, v13
	v_mul_f16_e32 v21, v21, v28
	v_cmp_eq_u32_e64 s0, 3, v31
	s_wait_alu 0xfffd
	v_cndmask_b32_e32 v32, v14, v17, vcc_lo
	v_cmp_lt_i32_e32 vcc_lo, 5, v31
	v_cvt_f32_f16_e32 v14, v26
	v_and_or_b32 v6, 0x1ff, v7, v6
	v_bfe_u32 v26, v7, 20, 11
	v_and_or_b32 v18, 0x8000, v18, v32
	s_or_b32 vcc_lo, s0, vcc_lo
	v_cvt_f64_f32_e32 v[14:15], v14
	v_fma_f16 v13, v13, v27, -v21
	s_delay_alu instid0(VALU_DEP_3) | instskip(SKIP_2) | instid1(VALU_DEP_4)
	v_and_b32_e32 v31, 0xffff, v18
	v_lshrrev_b32_e32 v17, 2, v20
	v_lshrrev_b32_e32 v20, 8, v7
	v_cvt_f32_f16_e32 v13, v13
	s_wait_alu 0xfffe
	s_delay_alu instid0(VALU_DEP_3)
	v_add_co_ci_u32_e32 v17, vcc_lo, 0, v17, vcc_lo
	v_cmp_ne_u32_e32 vcc_lo, 0, v6
	s_wait_alu 0xfffd
	v_cndmask_b32_e64 v6, 0, 1, vcc_lo
	v_cmp_ne_u32_e32 vcc_lo, 0, v19
	v_and_or_b32 v4, 0x1ff, v5, v4
	s_delay_alu instid0(VALU_DEP_3)
	v_and_or_b32 v6, 0xffe, v20, v6
	v_sub_nc_u32_e32 v20, 0x3f1, v26
	s_wait_alu 0xfffd
	v_cndmask_b32_e64 v19, 0, 1, vcc_lo
	v_cmp_gt_i32_e32 vcc_lo, 31, v25
	v_add_nc_u32_e32 v26, 0xfffffc10, v26
	v_or_b32_e32 v21, 0x1000, v6
	v_med3_i32 v20, v20, 0, 13
	v_lshl_or_b32 v19, v19, 9, 0x7c00
	s_wait_alu 0xfffd
	v_cndmask_b32_e32 v17, 0x7c00, v17, vcc_lo
	v_cmp_eq_u32_e32 vcc_lo, 0x40f, v25
	v_lshrrev_b32_e32 v25, 16, v16
	v_lshrrev_b32_e32 v27, v20, v21
	s_wait_alu 0xfffd
	v_cndmask_b32_e32 v19, v17, v19, vcc_lo
	v_cvt_f64_f32_e32 v[16:17], v13
	s_delay_alu instid0(VALU_DEP_3)
	v_lshlrev_b32_e32 v13, v20, v27
	v_cmp_ne_u32_e32 vcc_lo, 0, v4
	v_bfe_u32 v20, v5, 20, 11
	v_and_or_b32 v25, 0x8000, v25, v19
	v_lshrrev_b32_e32 v19, 8, v5
	v_lshrrev_b32_e32 v5, 16, v5
	s_wait_alu 0xfffd
	v_cndmask_b32_e64 v4, 0, 1, vcc_lo
	v_cmp_ne_u32_e32 vcc_lo, v13, v21
	v_mul_f64_e32 v[13:14], s[28:29], v[14:15]
	v_lshl_or_b32 v25, v25, 16, v31
	s_delay_alu instid0(VALU_DEP_4)
	v_and_or_b32 v4, 0xffe, v19, v4
	s_wait_alu 0xfffd
	v_cndmask_b32_e64 v21, 0, 1, vcc_lo
	v_sub_nc_u32_e32 v19, 0x3f1, v20
	v_cmp_gt_i32_e32 vcc_lo, 1, v26
	v_add_nc_u32_e32 v20, 0xfffffc10, v20
	s_delay_alu instid0(VALU_DEP_4)
	v_or_b32_e32 v15, v27, v21
	v_lshl_or_b32 v21, v26, 12, v6
	v_or_b32_e32 v27, 0x1000, v4
	v_med3_i32 v28, v19, 0, 13
	ds_load_2addr_b32 v[18:19], v8 offset0:27 offset1:30
	s_clause 0x1
	global_store_b32 v[0:1], v29, off
	global_store_b32 v[2:3], v30, off
	s_wait_alu 0xfffd
	v_cndmask_b32_e32 v15, v21, v15, vcc_lo
	v_add_co_u32 v0, vcc_lo, v2, s26
	v_lshrrev_b32_e32 v21, v28, v27
	s_wait_alu 0xfffd
	v_add_co_ci_u32_e32 v1, vcc_lo, s27, v3, vcc_lo
	v_and_b32_e32 v29, 7, v15
	v_lshrrev_b32_e32 v15, 2, v15
	v_lshlrev_b32_e32 v28, v28, v21
	global_store_b32 v[0:1], v25, off
	v_cmp_lt_i32_e32 vcc_lo, 5, v29
	v_cmp_eq_u32_e64 s0, 3, v29
	v_cmp_ne_u32_e64 s1, v28, v27
	v_mul_f64_e32 v[2:3], s[28:29], v[16:17]
	s_wait_loadcnt 0x3
	v_lshrrev_b32_e32 v28, 16, v12
	s_or_b32 vcc_lo, s0, vcc_lo
	v_cndmask_b32_e64 v27, 0, 1, s1
	s_wait_alu 0xfffe
	v_add_co_ci_u32_e32 v15, vcc_lo, 0, v15, vcc_lo
	v_cmp_ne_u32_e32 vcc_lo, 0, v6
	s_wait_dscnt 0x0
	v_lshrrev_b32_e32 v17, 16, v18
	v_or_b32_e32 v16, v21, v27
	v_lshl_or_b32 v21, v20, 12, v4
	v_and_or_b32 v13, 0x1ff, v14, v13
	s_wait_alu 0xfffd
	v_cndmask_b32_e64 v6, 0, 1, vcc_lo
	v_cmp_gt_i32_e32 vcc_lo, 1, v20
	v_mul_f16_e32 v27, v17, v28
	v_bfe_u32 v31, v14, 20, 11
	s_delay_alu instid0(VALU_DEP_4)
	v_lshl_or_b32 v6, v6, 9, 0x7c00
	s_wait_alu 0xfffd
	v_cndmask_b32_e32 v21, v21, v16, vcc_lo
	v_cmp_gt_i32_e32 vcc_lo, 31, v26
	v_fmac_f16_e32 v27, v18, v12
	v_mul_f16_e32 v18, v18, v28
	v_add_nc_u32_e32 v28, 0xfffffc10, v31
	s_wait_alu 0xfffd
	v_dual_cndmask_b32 v29, 0x7c00, v15 :: v_dual_and_b32 v30, 7, v21
	v_cmp_ne_u32_e32 vcc_lo, 0, v13
	v_cvt_f32_f16_e32 v15, v27
	v_lshrrev_b32_e32 v27, 8, v14
	s_delay_alu instid0(VALU_DEP_4)
	v_cmp_eq_u32_e64 s0, 3, v30
	v_fma_f16 v12, v12, v17, -v18
	s_wait_alu 0xfffd
	v_cndmask_b32_e64 v13, 0, 1, vcc_lo
	v_cmp_eq_u32_e32 vcc_lo, 0x40f, v26
	v_cvt_f64_f32_e32 v[15:16], v15
	v_lshrrev_b32_e32 v14, 16, v14
	v_cvt_f32_f16_e32 v12, v12
	v_and_or_b32 v27, 0xffe, v27, v13
	s_wait_alu 0xfffd
	v_cndmask_b32_e32 v26, v29, v6, vcc_lo
	v_cmp_lt_i32_e32 vcc_lo, 5, v30
	v_lshrrev_b32_e32 v29, 16, v7
	v_lshrrev_b32_e32 v7, 2, v21
	v_sub_nc_u32_e32 v6, 0x3f1, v31
	v_or_b32_e32 v13, 0x1000, v27
	s_or_b32 vcc_lo, s0, vcc_lo
	v_and_or_b32 v2, 0x1ff, v3, v2
	s_wait_alu 0xfffe
	v_add_co_ci_u32_e32 v7, vcc_lo, 0, v7, vcc_lo
	v_med3_i32 v6, v6, 0, 13
	v_cmp_ne_u32_e32 vcc_lo, 0, v4
	v_bfe_u32 v32, v3, 20, 11
	v_lshl_or_b32 v17, v28, 12, v27
	s_delay_alu instid0(VALU_DEP_4) | instskip(SKIP_3) | instid1(VALU_DEP_3)
	v_lshrrev_b32_e32 v21, v6, v13
	s_wait_alu 0xfffd
	v_cndmask_b32_e64 v4, 0, 1, vcc_lo
	v_cmp_gt_i32_e32 vcc_lo, 31, v20
	v_lshlrev_b32_e32 v6, v6, v21
	s_delay_alu instid0(VALU_DEP_3)
	v_lshl_or_b32 v4, v4, 9, 0x7c00
	s_wait_alu 0xfffd
	v_cndmask_b32_e32 v30, 0x7c00, v7, vcc_lo
	v_cmp_ne_u32_e32 vcc_lo, 0, v2
	v_lshrrev_b32_e32 v7, 8, v3
	v_lshrrev_b32_e32 v3, 16, v3
	s_wait_alu 0xfffd
	v_cndmask_b32_e64 v2, 0, 1, vcc_lo
	v_cmp_ne_u32_e32 vcc_lo, v6, v13
	s_delay_alu instid0(VALU_DEP_2)
	v_and_or_b32 v2, 0xffe, v7, v2
	s_wait_alu 0xfffd
	v_cndmask_b32_e64 v6, 0, 1, vcc_lo
	v_sub_nc_u32_e32 v7, 0x3f1, v32
	v_cmp_gt_i32_e32 vcc_lo, 1, v28
	v_or_b32_e32 v18, 0x1000, v2
	s_delay_alu instid0(VALU_DEP_4) | instskip(NEXT) | instid1(VALU_DEP_4)
	v_or_b32_e32 v13, v21, v6
	v_med3_i32 v21, v7, 0, 13
	v_mul_f64_e32 v[6:7], s[28:29], v[15:16]
	s_wait_alu 0xfffd
	s_delay_alu instid0(VALU_DEP_3)
	v_cndmask_b32_e32 v15, v17, v13, vcc_lo
	v_cvt_f64_f32_e32 v[12:13], v12
	v_lshrrev_b32_e32 v16, v21, v18
	v_cmp_eq_u32_e32 vcc_lo, 0x40f, v20
	v_and_or_b32 v17, 0x8000, v29, v26
	v_and_b32_e32 v20, 7, v15
	s_delay_alu instid0(VALU_DEP_4) | instskip(SKIP_2) | instid1(VALU_DEP_3)
	v_lshlrev_b32_e32 v21, v21, v16
	s_wait_alu 0xfffd
	v_cndmask_b32_e32 v4, v30, v4, vcc_lo
	v_cmp_lt_i32_e32 vcc_lo, 5, v20
	s_delay_alu instid0(VALU_DEP_3) | instskip(NEXT) | instid1(VALU_DEP_3)
	v_cmp_ne_u32_e64 s0, v21, v18
	v_and_or_b32 v4, 0x8000, v5, v4
	v_and_b32_e32 v5, 0xffff, v17
	v_add_nc_u32_e32 v18, 0xfffffc10, v32
	s_wait_loadcnt 0x2
	v_lshrrev_b32_e32 v21, 16, v11
	s_wait_alu 0xf1ff
	v_cndmask_b32_e64 v17, 0, 1, s0
	v_cmp_eq_u32_e64 s0, 3, v20
	v_lshl_or_b32 v20, v4, 16, v5
	v_lshrrev_b32_e32 v4, 2, v15
	v_lshl_or_b32 v15, v18, 12, v2
	v_or_b32_e32 v5, v16, v17
	s_or_b32 vcc_lo, s0, vcc_lo
	v_lshrrev_b32_e32 v17, 16, v19
	s_wait_alu 0xfffe
	v_add_co_ci_u32_e32 v4, vcc_lo, 0, v4, vcc_lo
	v_cmp_gt_i32_e32 vcc_lo, 1, v18
	s_delay_alu instid0(VALU_DEP_3)
	v_mul_f16_e32 v16, v17, v21
	s_wait_alu 0xfffd
	v_cndmask_b32_e32 v15, v15, v5, vcc_lo
	v_add_co_u32 v0, vcc_lo, v0, s26
	s_wait_alu 0xfffd
	v_add_co_ci_u32_e32 v1, vcc_lo, s27, v1, vcc_lo
	v_cmp_gt_i32_e32 vcc_lo, 31, v28
	v_and_or_b32 v6, 0x1ff, v7, v6
	v_fmac_f16_e32 v16, v19, v11
	v_and_b32_e32 v26, 7, v15
	v_lshrrev_b32_e32 v15, 2, v15
	s_wait_alu 0xfffd
	v_cndmask_b32_e32 v25, 0x7c00, v4, vcc_lo
	v_mul_f64_e32 v[4:5], s[28:29], v[12:13]
	v_cmp_ne_u32_e32 vcc_lo, 0, v27
	v_cvt_f32_f16_e32 v12, v16
	v_cmp_ne_u32_e64 s0, 0, v6
	v_lshrrev_b32_e32 v16, 8, v7
	v_bfe_u32 v29, v7, 20, 11
	s_wait_alu 0xfffd
	v_cndmask_b32_e64 v27, 0, 1, vcc_lo
	v_cmp_lt_i32_e32 vcc_lo, 5, v26
	s_wait_alu 0xf1ff
	v_cndmask_b32_e64 v6, 0, 1, s0
	v_cmp_eq_u32_e64 s0, 3, v26
	v_cvt_f64_f32_e32 v[12:13], v12
	v_lshl_or_b32 v27, v27, 9, 0x7c00
	global_store_b32 v[0:1], v20, off
	v_and_or_b32 v6, 0xffe, v16, v6
	s_or_b32 vcc_lo, s0, vcc_lo
	v_sub_nc_u32_e32 v16, 0x3f1, v29
	s_wait_alu 0xfffe
	v_add_co_ci_u32_e32 v15, vcc_lo, 0, v15, vcc_lo
	v_cmp_ne_u32_e32 vcc_lo, 0, v2
	v_or_b32_e32 v26, 0x1000, v6
	v_med3_i32 v30, v16, 0, 13
	v_mad_co_u64_u32 v[0:1], null, s20, 24, v[0:1]
	s_wait_alu 0xfffd
	v_cndmask_b32_e64 v2, 0, 1, vcc_lo
	v_cmp_gt_i32_e32 vcc_lo, 31, v18
	v_lshrrev_b32_e32 v32, v30, v26
	s_delay_alu instid0(VALU_DEP_3)
	v_lshl_or_b32 v2, v2, 9, 0x7c00
	s_wait_alu 0xfffd
	v_cndmask_b32_e32 v31, 0x7c00, v15, vcc_lo
	v_cmp_eq_u32_e32 vcc_lo, 0x40f, v28
	v_mad_co_u64_u32 v[15:16], null, s20, v23, 0
	v_add_nc_u32_e32 v1, s2, v1
	s_wait_alu 0xfffd
	v_cndmask_b32_e32 v25, v25, v27, vcc_lo
	v_lshlrev_b32_e32 v27, v30, v32
	v_cmp_eq_u32_e32 vcc_lo, 0x40f, v18
	v_and_or_b32 v4, 0x1ff, v5, v4
	s_delay_alu instid0(VALU_DEP_4)
	v_and_or_b32 v25, 0x8000, v14, v25
	s_wait_alu 0xfffd
	v_cndmask_b32_e32 v18, v31, v2, vcc_lo
	v_cmp_ne_u32_e32 vcc_lo, v27, v26
	v_mov_b32_e32 v2, v16
	v_mul_f16_e32 v16, v19, v21
	v_and_b32_e32 v25, 0xffff, v25
	v_and_or_b32 v18, 0x8000, v3, v18
	s_wait_alu 0xfffd
	v_cndmask_b32_e64 v14, 0, 1, vcc_lo
	v_cmp_ne_u32_e32 vcc_lo, 0, v4
	v_mad_co_u64_u32 v[2:3], null, s21, v23, v[2:3]
	v_add_nc_u32_e32 v23, 0xfffffc10, v29
	v_mul_f64_e32 v[3:4], s[28:29], v[12:13]
	s_wait_alu 0xfffd
	v_cndmask_b32_e64 v19, 0, 1, vcc_lo
	v_lshrrev_b32_e32 v13, 8, v5
	v_fma_f16 v16, v11, v17, -v16
	v_bfe_u32 v17, v5, 20, 11
	v_or_b32_e32 v14, v32, v14
	ds_load_2addr_b32 v[11:12], v8 offset0:33 offset1:36
	v_lshl_or_b32 v8, v23, 12, v6
	v_cmp_gt_i32_e32 vcc_lo, 1, v23
	v_and_or_b32 v19, 0xffe, v13, v19
	v_cvt_f32_f16_e32 v13, v16
	v_sub_nc_u32_e32 v16, 0x3f1, v17
	v_lshl_or_b32 v18, v18, 16, v25
	s_wait_alu 0xfffd
	v_cndmask_b32_e32 v8, v8, v14, vcc_lo
	v_or_b32_e32 v21, 0x1000, v19
	v_cvt_f64_f32_e32 v[13:14], v13
	v_med3_i32 v26, v16, 0, 13
	s_delay_alu instid0(VALU_DEP_4) | instskip(SKIP_2) | instid1(VALU_DEP_4)
	v_dual_mov_b32 v16, v2 :: v_dual_and_b32 v27, 7, v8
	v_lshrrev_b32_e32 v8, 2, v8
	v_add_nc_u32_e32 v17, 0xfffffc10, v17
	v_lshrrev_b32_e32 v2, v26, v21
	s_delay_alu instid0(VALU_DEP_4) | instskip(SKIP_1) | instid1(VALU_DEP_3)
	v_cmp_lt_i32_e32 vcc_lo, 5, v27
	v_cmp_eq_u32_e64 s0, 3, v27
	v_lshlrev_b32_e32 v20, v26, v2
	s_wait_dscnt 0x0
	v_lshrrev_b32_e32 v25, 16, v11
	s_wait_loadcnt 0x1
	v_lshrrev_b32_e32 v26, 16, v33
	s_or_b32 vcc_lo, s0, vcc_lo
	s_wait_alu 0xfffe
	v_add_co_ci_u32_e32 v8, vcc_lo, 0, v8, vcc_lo
	v_cmp_ne_u32_e32 vcc_lo, v20, v21
	v_mul_f16_e32 v21, v25, v26
	s_wait_alu 0xfffd
	v_cndmask_b32_e64 v20, 0, 1, vcc_lo
	v_cmp_gt_i32_e32 vcc_lo, 31, v23
	s_delay_alu instid0(VALU_DEP_3)
	v_fmac_f16_e32 v21, v11, v33
	v_and_or_b32 v3, 0x1ff, v4, v3
	v_lshrrev_b32_e32 v28, 8, v4
	v_or_b32_e32 v2, v2, v20
	s_wait_alu 0xfffd
	v_cndmask_b32_e32 v8, 0x7c00, v8, vcc_lo
	v_cmp_ne_u32_e32 vcc_lo, 0, v6
	v_lshl_or_b32 v20, v17, 12, v19
	v_cvt_f32_f16_e32 v21, v21
	v_mul_f16_e32 v11, v11, v26
	s_wait_alu 0xfffd
	v_cndmask_b32_e64 v6, 0, 1, vcc_lo
	v_cmp_gt_i32_e32 vcc_lo, 1, v17
	v_mul_f64_e32 v[13:14], s[28:29], v[13:14]
	v_fma_f16 v11, v33, v25, -v11
	s_delay_alu instid0(VALU_DEP_4)
	v_lshl_or_b32 v6, v6, 9, 0x7c00
	s_wait_alu 0xfffd
	v_cndmask_b32_e32 v20, v20, v2, vcc_lo
	v_cmp_ne_u32_e32 vcc_lo, 0, v3
	v_cvt_f64_f32_e32 v[2:3], v21
	v_bfe_u32 v21, v4, 20, 11
	s_wait_loadcnt 0x0
	v_lshrrev_b32_e32 v25, 16, v24
	v_and_b32_e32 v29, 7, v20
	s_wait_alu 0xfffd
	v_cndmask_b32_e64 v27, 0, 1, vcc_lo
	v_cmp_eq_u32_e32 vcc_lo, 0x40f, v23
	v_lshrrev_b32_e32 v23, 16, v7
	v_lshrrev_b32_e32 v4, 16, v4
	v_cmp_eq_u32_e64 s0, 3, v29
	v_and_or_b32 v27, 0xffe, v28, v27
	v_sub_nc_u32_e32 v28, 0x3f1, v21
	s_wait_alu 0xfffd
	v_cndmask_b32_e32 v8, v8, v6, vcc_lo
	v_cmp_lt_i32_e32 vcc_lo, 5, v29
	v_lshlrev_b64_e32 v[6:7], 2, v[15:16]
	v_lshrrev_b32_e32 v15, 2, v20
	v_or_b32_e32 v30, 0x1000, v27
	v_med3_i32 v28, v28, 0, 13
	s_or_b32 vcc_lo, s0, vcc_lo
	v_add_nc_u32_e32 v21, 0xfffffc10, v21
	s_wait_alu 0xfffe
	v_add_co_ci_u32_e32 v15, vcc_lo, 0, v15, vcc_lo
	v_lshrrev_b32_e32 v16, v28, v30
	v_cmp_ne_u32_e32 vcc_lo, 0, v19
	v_and_or_b32 v8, 0x8000, v23, v8
	v_lshrrev_b32_e32 v23, 16, v12
	s_delay_alu instid0(VALU_DEP_4)
	v_lshlrev_b32_e32 v20, v28, v16
	s_wait_alu 0xfffd
	v_cndmask_b32_e64 v19, 0, 1, vcc_lo
	v_cmp_gt_i32_e32 vcc_lo, 31, v17
	v_mul_f16_e32 v26, v23, v25
	v_mul_f16_e32 v25, v12, v25
	s_delay_alu instid0(VALU_DEP_4)
	v_lshl_or_b32 v19, v19, 9, 0x7c00
	s_wait_alu 0xfffd
	v_cndmask_b32_e32 v15, 0x7c00, v15, vcc_lo
	v_cmp_ne_u32_e32 vcc_lo, v20, v30
	v_and_or_b32 v13, 0x1ff, v14, v13
	v_fmac_f16_e32 v26, v12, v24
	v_mul_f64_e32 v[2:3], s[28:29], v[2:3]
	s_wait_alu 0xfffd
	v_cndmask_b32_e64 v20, 0, 1, vcc_lo
	v_cmp_eq_u32_e32 vcc_lo, 0x40f, v17
	s_wait_alu 0xfffd
	v_cndmask_b32_e32 v17, v15, v19, vcc_lo
	s_delay_alu instid0(VALU_DEP_3)
	v_or_b32_e32 v15, v16, v20
	v_lshl_or_b32 v16, v21, 12, v27
	v_lshrrev_b32_e32 v19, 16, v5
	v_cvt_f32_f16_e32 v5, v11
	v_cmp_gt_i32_e32 vcc_lo, 1, v21
	v_bfe_u32 v20, v14, 20, 11
	s_delay_alu instid0(VALU_DEP_4)
	v_and_or_b32 v17, 0x8000, v19, v17
	v_and_b32_e32 v19, 0xffff, v8
	s_wait_alu 0xfffd
	v_cndmask_b32_e32 v11, v16, v15, vcc_lo
	v_cvt_f64_f32_e32 v[15:16], v5
	v_add_co_u32 v5, vcc_lo, v9, v6
	s_wait_alu 0xfffd
	v_add_co_ci_u32_e32 v6, vcc_lo, v10, v7, vcc_lo
	v_cmp_ne_u32_e32 vcc_lo, 0, v13
	v_and_b32_e32 v7, 7, v11
	v_lshrrev_b32_e32 v13, 8, v14
	v_lshl_or_b32 v17, v17, 16, v19
	v_lshrrev_b32_e32 v14, 16, v14
	s_wait_alu 0xfffd
	v_cndmask_b32_e64 v8, 0, 1, vcc_lo
	v_cmp_lt_i32_e32 vcc_lo, 5, v7
	v_cmp_eq_u32_e64 s0, 3, v7
	v_lshrrev_b32_e32 v7, 2, v11
	s_delay_alu instid0(VALU_DEP_4) | instskip(SKIP_1) | instid1(VALU_DEP_4)
	v_and_or_b32 v13, 0xffe, v13, v8
	v_sub_nc_u32_e32 v8, 0x3f1, v20
	s_or_b32 vcc_lo, s0, vcc_lo
	v_add_nc_u32_e32 v20, 0xfffffc10, v20
	s_wait_alu 0xfffe
	v_add_co_ci_u32_e32 v7, vcc_lo, 0, v7, vcc_lo
	v_or_b32_e32 v28, 0x1000, v13
	v_med3_i32 v11, v8, 0, 13
	v_cmp_ne_u32_e32 vcc_lo, 0, v27
	v_cvt_f32_f16_e32 v8, v26
	v_and_or_b32 v2, 0x1ff, v3, v2
	v_bfe_u32 v31, v3, 20, 11
	v_lshrrev_b32_e32 v26, v11, v28
	s_wait_alu 0xfffd
	v_cndmask_b32_e64 v27, 0, 1, vcc_lo
	v_cmp_gt_i32_e32 vcc_lo, 31, v21
	s_delay_alu instid0(VALU_DEP_3) | instskip(NEXT) | instid1(VALU_DEP_3)
	v_lshlrev_b32_e32 v30, v11, v26
	v_lshl_or_b32 v27, v27, 9, 0x7c00
	s_wait_alu 0xfffd
	v_cndmask_b32_e32 v29, 0x7c00, v7, vcc_lo
	v_cmp_ne_u32_e32 vcc_lo, 0, v2
	v_cvt_f64_f32_e32 v[7:8], v8
	v_mul_f64_e32 v[11:12], s[28:29], v[15:16]
	v_lshrrev_b32_e32 v15, 8, v3
	s_wait_alu 0xfffd
	v_cndmask_b32_e64 v2, 0, 1, vcc_lo
	v_cmp_ne_u32_e32 vcc_lo, v30, v28
	v_fma_f16 v16, v24, v23, -v25
	v_lshl_or_b32 v24, v20, 12, v13
	v_lshrrev_b32_e32 v3, 16, v3
	v_and_or_b32 v2, 0xffe, v15, v2
	s_wait_alu 0xfffd
	v_cndmask_b32_e64 v23, 0, 1, vcc_lo
	v_sub_nc_u32_e32 v15, 0x3f1, v31
	v_cmp_gt_i32_e32 vcc_lo, 1, v20
	v_cvt_f32_f16_e32 v16, v16
	v_or_b32_e32 v25, 0x1000, v2
	v_or_b32_e32 v23, v26, v23
	v_med3_i32 v26, v15, 0, 13
	s_delay_alu instid0(VALU_DEP_4) | instskip(SKIP_1) | instid1(VALU_DEP_3)
	v_cvt_f64_f32_e32 v[15:16], v16
	s_wait_alu 0xfffd
	v_cndmask_b32_e32 v23, v24, v23, vcc_lo
	v_cmp_eq_u32_e32 vcc_lo, 0x40f, v21
	v_lshrrev_b32_e32 v24, v26, v25
	s_wait_alu 0xfffd
	v_cndmask_b32_e32 v21, v29, v27, vcc_lo
	v_and_b32_e32 v27, 7, v23
	s_delay_alu instid0(VALU_DEP_3) | instskip(NEXT) | instid1(VALU_DEP_3)
	v_lshlrev_b32_e32 v19, v26, v24
	v_and_or_b32 v4, 0x8000, v4, v21
	s_delay_alu instid0(VALU_DEP_3)
	v_cmp_lt_i32_e32 vcc_lo, 5, v27
	v_cmp_eq_u32_e64 s0, 3, v27
	v_lshrrev_b32_e32 v21, 2, v23
	v_cmp_ne_u32_e64 s1, v19, v25
	v_add_nc_u32_e32 v23, 0xfffffc10, v31
	v_and_b32_e32 v4, 0xffff, v4
	s_or_b32 vcc_lo, s0, vcc_lo
	v_mul_f64_e32 v[7:8], s[28:29], v[7:8]
	s_wait_alu 0xfffe
	v_add_co_ci_u32_e32 v21, vcc_lo, 0, v21, vcc_lo
	v_cndmask_b32_e64 v19, 0, 1, s1
	v_cmp_ne_u32_e32 vcc_lo, 0, v13
	v_and_or_b32 v11, 0x1ff, v12, v11
	v_bfe_u32 v25, v12, 20, 11
	s_delay_alu instid0(VALU_DEP_4) | instskip(SKIP_4) | instid1(VALU_DEP_2)
	v_or_b32_e32 v19, v24, v19
	v_lshl_or_b32 v24, v23, 12, v2
	s_wait_alu 0xfffd
	v_cndmask_b32_e64 v13, 0, 1, vcc_lo
	v_cmp_gt_i32_e32 vcc_lo, 1, v23
	v_lshl_or_b32 v13, v13, 9, 0x7c00
	s_wait_alu 0xfffd
	v_cndmask_b32_e32 v19, v24, v19, vcc_lo
	v_cmp_ne_u32_e32 vcc_lo, 0, v11
	v_lshrrev_b32_e32 v24, 8, v12
	v_mul_f64_e32 v[15:16], s[28:29], v[15:16]
	v_lshrrev_b32_e32 v12, 16, v12
	v_and_b32_e32 v26, 7, v19
	s_wait_alu 0xfffd
	v_cndmask_b32_e64 v11, 0, 1, vcc_lo
	v_cmp_gt_i32_e32 vcc_lo, 31, v20
	s_delay_alu instid0(VALU_DEP_3) | instskip(NEXT) | instid1(VALU_DEP_3)
	v_cmp_eq_u32_e64 s0, 3, v26
	v_and_or_b32 v11, 0xffe, v24, v11
	s_wait_alu 0xfffd
	v_cndmask_b32_e32 v21, 0x7c00, v21, vcc_lo
	v_cmp_eq_u32_e32 vcc_lo, 0x40f, v20
	v_sub_nc_u32_e32 v24, 0x3f1, v25
	v_or_b32_e32 v20, 0x1000, v11
	s_wait_alu 0xfffd
	v_cndmask_b32_e32 v13, v21, v13, vcc_lo
	s_delay_alu instid0(VALU_DEP_3) | instskip(SKIP_2) | instid1(VALU_DEP_4)
	v_med3_i32 v21, v24, 0, 13
	v_cmp_lt_i32_e32 vcc_lo, 5, v26
	v_bfe_u32 v24, v8, 20, 11
	v_and_or_b32 v13, 0x8000, v14, v13
	v_lshrrev_b32_e32 v14, 2, v19
	v_lshrrev_b32_e32 v19, v21, v20
	s_or_b32 vcc_lo, s0, vcc_lo
	s_delay_alu instid0(VALU_DEP_3)
	v_lshl_or_b32 v13, v13, 16, v4
	s_wait_alu 0xfffe
	v_add_co_ci_u32_e32 v14, vcc_lo, 0, v14, vcc_lo
	v_lshlrev_b32_e32 v21, v21, v19
	v_cmp_gt_i32_e32 vcc_lo, 31, v23
	v_and_or_b32 v4, 0x1ff, v8, v7
	s_wait_alu 0xfffd
	v_cndmask_b32_e32 v7, 0x7c00, v14, vcc_lo
	v_cmp_ne_u32_e32 vcc_lo, v21, v20
	v_add_nc_u32_e32 v20, 0xfffffc10, v25
	v_lshrrev_b32_e32 v21, 8, v8
	v_and_or_b32 v15, 0x1ff, v16, v15
	v_lshrrev_b32_e32 v25, 8, v16
	s_wait_alu 0xfffd
	v_cndmask_b32_e64 v14, 0, 1, vcc_lo
	v_cmp_ne_u32_e32 vcc_lo, 0, v4
	v_bfe_u32 v26, v16, 20, 11
	v_cmp_eq_u32_e64 s1, 0x40f, v20
	v_lshrrev_b32_e32 v8, 16, v8
	v_or_b32_e32 v14, v19, v14
	s_wait_alu 0xfffd
	v_cndmask_b32_e64 v4, 0, 1, vcc_lo
	v_cmp_ne_u32_e32 vcc_lo, 0, v2
	v_lshl_or_b32 v19, v20, 12, v11
	s_delay_alu instid0(VALU_DEP_3) | instskip(SKIP_4) | instid1(VALU_DEP_3)
	v_and_or_b32 v4, 0xffe, v21, v4
	s_wait_alu 0xfffd
	v_cndmask_b32_e64 v2, 0, 1, vcc_lo
	v_sub_nc_u32_e32 v21, 0x3f1, v24
	v_cmp_gt_i32_e32 vcc_lo, 1, v20
	v_lshl_or_b32 v2, v2, 9, 0x7c00
	s_delay_alu instid0(VALU_DEP_3) | instskip(SKIP_4) | instid1(VALU_DEP_2)
	v_med3_i32 v21, v21, 0, 13
	s_wait_alu 0xfffd
	v_cndmask_b32_e32 v14, v19, v14, vcc_lo
	v_or_b32_e32 v19, 0x1000, v4
	v_cmp_eq_u32_e32 vcc_lo, 0x40f, v23
	v_lshrrev_b32_e32 v23, v21, v19
	s_wait_alu 0xfffd
	v_cndmask_b32_e32 v2, v7, v2, vcc_lo
	v_cmp_ne_u32_e32 vcc_lo, 0, v15
	s_delay_alu instid0(VALU_DEP_3) | instskip(NEXT) | instid1(VALU_DEP_3)
	v_lshlrev_b32_e32 v21, v21, v23
	v_and_or_b32 v27, 0x8000, v3, v2
	s_wait_alu 0xfffd
	v_cndmask_b32_e64 v15, 0, 1, vcc_lo
	v_sub_nc_u32_e32 v2, 0x3f1, v26
	v_cmp_ne_u32_e64 s0, v21, v19
	v_add_nc_u32_e32 v19, 0xfffffc10, v24
	v_and_b32_e32 v7, 7, v14
	v_and_or_b32 v15, 0xffe, v25, v15
	v_med3_i32 v2, v2, 0, 13
	s_wait_alu 0xf1ff
	v_cndmask_b32_e64 v3, 0, 1, s0
	v_cmp_lt_i32_e32 vcc_lo, 5, v7
	v_cmp_eq_u32_e64 s0, 3, v7
	v_lshrrev_b32_e32 v7, 2, v14
	v_or_b32_e32 v21, 0x1000, v15
	v_or_b32_e32 v3, v23, v3
	v_lshl_or_b32 v14, v19, 12, v4
	s_or_b32 vcc_lo, s0, vcc_lo
	s_wait_alu 0xfffe
	v_add_co_ci_u32_e32 v7, vcc_lo, 0, v7, vcc_lo
	v_cmp_gt_i32_e32 vcc_lo, 1, v19
	v_lshrrev_b32_e32 v23, v2, v21
	s_wait_alu 0xfffd
	v_cndmask_b32_e32 v3, v14, v3, vcc_lo
	v_cmp_gt_i32_e32 vcc_lo, 31, v20
	s_delay_alu instid0(VALU_DEP_3) | instskip(NEXT) | instid1(VALU_DEP_3)
	v_lshlrev_b32_e32 v2, v2, v23
	v_and_b32_e32 v14, 7, v3
	s_wait_alu 0xfffd
	v_cndmask_b32_e32 v7, 0x7c00, v7, vcc_lo
	v_cmp_ne_u32_e32 vcc_lo, 0, v11
	v_lshrrev_b32_e32 v3, 2, v3
	v_cmp_eq_u32_e64 s0, 3, v14
	s_wait_alu 0xfffd
	v_cndmask_b32_e64 v11, 0, 1, vcc_lo
	v_cmp_ne_u32_e32 vcc_lo, v2, v21
	v_add_nc_u32_e32 v21, 0xfffffc10, v26
	s_delay_alu instid0(VALU_DEP_3)
	v_lshl_or_b32 v11, v11, 9, 0x7c00
	s_wait_alu 0xfffd
	v_cndmask_b32_e64 v2, 0, 1, vcc_lo
	v_cmp_lt_i32_e32 vcc_lo, 5, v14
	v_lshl_or_b32 v14, v21, 12, v15
	v_cndmask_b32_e64 v7, v7, v11, s1
	s_delay_alu instid0(VALU_DEP_4) | instskip(SKIP_2) | instid1(VALU_DEP_3)
	v_or_b32_e32 v2, v23, v2
	v_cmp_gt_i32_e64 s1, 1, v21
	s_or_b32 vcc_lo, s0, vcc_lo
	v_and_or_b32 v12, 0x8000, v12, v7
	s_delay_alu instid0(VALU_DEP_2)
	v_cndmask_b32_e64 v11, v14, v2, s1
	s_wait_alu 0xfffe
	v_add_co_ci_u32_e32 v2, vcc_lo, 0, v3, vcc_lo
	v_cmp_ne_u32_e32 vcc_lo, 0, v4
	v_cmp_eq_u32_e64 s1, 0x40f, v19
	v_and_b32_e32 v4, 7, v11
	s_wait_alu 0xfffd
	v_cndmask_b32_e64 v3, 0, 1, vcc_lo
	v_cmp_gt_i32_e32 vcc_lo, 31, v19
	s_delay_alu instid0(VALU_DEP_3) | instskip(NEXT) | instid1(VALU_DEP_3)
	v_cmp_eq_u32_e64 s0, 3, v4
	v_lshl_or_b32 v20, v3, 9, 0x7c00
	s_wait_alu 0xfffd
	v_cndmask_b32_e32 v14, 0x7c00, v2, vcc_lo
	v_cmp_lt_i32_e32 vcc_lo, 5, v4
	v_lshrrev_b32_e32 v4, 2, v11
	v_mad_co_u64_u32 v[2:3], null, s20, v22, 0
	s_wait_alu 0xf1ff
	v_cndmask_b32_e64 v11, v14, v20, s1
	s_or_b32 vcc_lo, s0, vcc_lo
	s_wait_alu 0xfffe
	v_add_co_ci_u32_e32 v4, vcc_lo, 0, v4, vcc_lo
	v_cmp_ne_u32_e32 vcc_lo, 0, v15
	v_and_or_b32 v11, 0x8000, v8, v11
	s_wait_alu 0xfffd
	v_cndmask_b32_e64 v14, 0, 1, vcc_lo
	v_cmp_gt_i32_e32 vcc_lo, 31, v21
	s_wait_alu 0xfffd
	v_cndmask_b32_e32 v15, 0x7c00, v4, vcc_lo
	v_mad_co_u64_u32 v[3:4], null, s21, v22, v[3:4]
	v_lshl_or_b32 v4, v14, 9, 0x7c00
	v_cmp_eq_u32_e32 vcc_lo, 0x40f, v21
	v_and_b32_e32 v14, 0xffff, v27
	s_wait_alu 0xfffd
	s_delay_alu instid0(VALU_DEP_3)
	v_cndmask_b32_e32 v4, v15, v4, vcc_lo
	v_lshrrev_b32_e32 v15, 16, v16
	v_add_co_u32 v7, vcc_lo, v0, s26
	s_wait_alu 0xfffd
	v_add_co_ci_u32_e32 v8, vcc_lo, s27, v1, vcc_lo
	v_lshlrev_b64_e32 v[2:3], 2, v[2:3]
	v_and_or_b32 v4, 0x8000, v15, v4
	v_and_b32_e32 v15, 0xffff, v11
	v_add_co_u32 v11, vcc_lo, v7, s26
	v_lshl_or_b32 v14, v12, 16, v14
	s_wait_alu 0xfffd
	v_add_co_ci_u32_e32 v12, vcc_lo, s27, v8, vcc_lo
	v_add_co_u32 v2, vcc_lo, v9, v2
	v_lshl_or_b32 v4, v4, 16, v15
	s_wait_alu 0xfffd
	v_add_co_ci_u32_e32 v3, vcc_lo, v10, v3, vcc_lo
	global_store_b32 v[5:6], v18, off
	global_store_b32 v[0:1], v17, off
	;; [unrolled: 1-line block ×5, first 2 shown]
.LBB0_15:
	s_nop 0
	s_sendmsg sendmsg(MSG_DEALLOC_VGPRS)
	s_endpgm
	.section	.rodata,"a",@progbits
	.p2align	6, 0x0
	.amdhsa_kernel bluestein_single_fwd_len39_dim1_half_op_CI_CI
		.amdhsa_group_segment_fixed_size 2964
		.amdhsa_private_segment_fixed_size 0
		.amdhsa_kernarg_size 104
		.amdhsa_user_sgpr_count 2
		.amdhsa_user_sgpr_dispatch_ptr 0
		.amdhsa_user_sgpr_queue_ptr 0
		.amdhsa_user_sgpr_kernarg_segment_ptr 1
		.amdhsa_user_sgpr_dispatch_id 0
		.amdhsa_user_sgpr_private_segment_size 0
		.amdhsa_wavefront_size32 1
		.amdhsa_uses_dynamic_stack 0
		.amdhsa_enable_private_segment 0
		.amdhsa_system_sgpr_workgroup_id_x 1
		.amdhsa_system_sgpr_workgroup_id_y 0
		.amdhsa_system_sgpr_workgroup_id_z 0
		.amdhsa_system_sgpr_workgroup_info 0
		.amdhsa_system_vgpr_workitem_id 0
		.amdhsa_next_free_vgpr 128
		.amdhsa_next_free_sgpr 30
		.amdhsa_reserve_vcc 1
		.amdhsa_float_round_mode_32 0
		.amdhsa_float_round_mode_16_64 0
		.amdhsa_float_denorm_mode_32 3
		.amdhsa_float_denorm_mode_16_64 3
		.amdhsa_fp16_overflow 0
		.amdhsa_workgroup_processor_mode 1
		.amdhsa_memory_ordered 1
		.amdhsa_forward_progress 0
		.amdhsa_round_robin_scheduling 0
		.amdhsa_exception_fp_ieee_invalid_op 0
		.amdhsa_exception_fp_denorm_src 0
		.amdhsa_exception_fp_ieee_div_zero 0
		.amdhsa_exception_fp_ieee_overflow 0
		.amdhsa_exception_fp_ieee_underflow 0
		.amdhsa_exception_fp_ieee_inexact 0
		.amdhsa_exception_int_div_zero 0
	.end_amdhsa_kernel
	.text
.Lfunc_end0:
	.size	bluestein_single_fwd_len39_dim1_half_op_CI_CI, .Lfunc_end0-bluestein_single_fwd_len39_dim1_half_op_CI_CI
                                        ; -- End function
	.section	.AMDGPU.csdata,"",@progbits
; Kernel info:
; codeLenInByte = 18132
; NumSgprs: 32
; NumVgprs: 128
; ScratchSize: 0
; MemoryBound: 0
; FloatMode: 240
; IeeeMode: 1
; LDSByteSize: 2964 bytes/workgroup (compile time only)
; SGPRBlocks: 3
; VGPRBlocks: 15
; NumSGPRsForWavesPerEU: 32
; NumVGPRsForWavesPerEU: 128
; Occupancy: 10
; WaveLimiterHint : 1
; COMPUTE_PGM_RSRC2:SCRATCH_EN: 0
; COMPUTE_PGM_RSRC2:USER_SGPR: 2
; COMPUTE_PGM_RSRC2:TRAP_HANDLER: 0
; COMPUTE_PGM_RSRC2:TGID_X_EN: 1
; COMPUTE_PGM_RSRC2:TGID_Y_EN: 0
; COMPUTE_PGM_RSRC2:TGID_Z_EN: 0
; COMPUTE_PGM_RSRC2:TIDIG_COMP_CNT: 0
	.text
	.p2alignl 7, 3214868480
	.fill 96, 4, 3214868480
	.type	__hip_cuid_fccfd7e797c2ce83,@object ; @__hip_cuid_fccfd7e797c2ce83
	.section	.bss,"aw",@nobits
	.globl	__hip_cuid_fccfd7e797c2ce83
__hip_cuid_fccfd7e797c2ce83:
	.byte	0                               ; 0x0
	.size	__hip_cuid_fccfd7e797c2ce83, 1

	.ident	"AMD clang version 19.0.0git (https://github.com/RadeonOpenCompute/llvm-project roc-6.4.0 25133 c7fe45cf4b819c5991fe208aaa96edf142730f1d)"
	.section	".note.GNU-stack","",@progbits
	.addrsig
	.addrsig_sym __hip_cuid_fccfd7e797c2ce83
	.amdgpu_metadata
---
amdhsa.kernels:
  - .args:
      - .actual_access:  read_only
        .address_space:  global
        .offset:         0
        .size:           8
        .value_kind:     global_buffer
      - .actual_access:  read_only
        .address_space:  global
        .offset:         8
        .size:           8
        .value_kind:     global_buffer
      - .actual_access:  read_only
        .address_space:  global
        .offset:         16
        .size:           8
        .value_kind:     global_buffer
      - .actual_access:  read_only
        .address_space:  global
        .offset:         24
        .size:           8
        .value_kind:     global_buffer
      - .actual_access:  read_only
        .address_space:  global
        .offset:         32
        .size:           8
        .value_kind:     global_buffer
      - .offset:         40
        .size:           8
        .value_kind:     by_value
      - .address_space:  global
        .offset:         48
        .size:           8
        .value_kind:     global_buffer
      - .address_space:  global
        .offset:         56
        .size:           8
        .value_kind:     global_buffer
      - .address_space:  global
        .offset:         64
        .size:           8
        .value_kind:     global_buffer
      - .address_space:  global
        .offset:         72
        .size:           8
        .value_kind:     global_buffer
      - .offset:         80
        .size:           4
        .value_kind:     by_value
      - .address_space:  global
        .offset:         88
        .size:           8
        .value_kind:     global_buffer
      - .address_space:  global
        .offset:         96
        .size:           8
        .value_kind:     global_buffer
    .group_segment_fixed_size: 2964
    .kernarg_segment_align: 8
    .kernarg_segment_size: 104
    .language:       OpenCL C
    .language_version:
      - 2
      - 0
    .max_flat_workgroup_size: 247
    .name:           bluestein_single_fwd_len39_dim1_half_op_CI_CI
    .private_segment_fixed_size: 0
    .sgpr_count:     32
    .sgpr_spill_count: 0
    .symbol:         bluestein_single_fwd_len39_dim1_half_op_CI_CI.kd
    .uniform_work_group_size: 1
    .uses_dynamic_stack: false
    .vgpr_count:     128
    .vgpr_spill_count: 0
    .wavefront_size: 32
    .workgroup_processor_mode: 1
amdhsa.target:   amdgcn-amd-amdhsa--gfx1201
amdhsa.version:
  - 1
  - 2
...

	.end_amdgpu_metadata
